;; amdgpu-corpus repo=ROCm/rocFFT kind=compiled arch=gfx1201 opt=O3
	.text
	.amdgcn_target "amdgcn-amd-amdhsa--gfx1201"
	.amdhsa_code_object_version 6
	.protected	bluestein_single_back_len624_dim1_half_op_CI_CI ; -- Begin function bluestein_single_back_len624_dim1_half_op_CI_CI
	.globl	bluestein_single_back_len624_dim1_half_op_CI_CI
	.p2align	8
	.type	bluestein_single_back_len624_dim1_half_op_CI_CI,@function
bluestein_single_back_len624_dim1_half_op_CI_CI: ; @bluestein_single_back_len624_dim1_half_op_CI_CI
; %bb.0:
	s_load_b128 s[4:7], s[0:1], 0x28
	v_mul_u32_u24_e32 v1, 0x4ed, v0
	s_mov_b32 s2, exec_lo
	v_mov_b32_e32 v14, 0
	s_delay_alu instid0(VALU_DEP_2) | instskip(NEXT) | instid1(VALU_DEP_1)
	v_lshrrev_b32_e32 v1, 16, v1
	v_add_nc_u32_e32 v13, ttmp9, v1
	s_wait_kmcnt 0x0
	s_delay_alu instid0(VALU_DEP_1)
	v_cmpx_gt_u64_e64 s[4:5], v[13:14]
	s_cbranch_execz .LBB0_15
; %bb.1:
	v_mul_lo_u16 v1, v1, 52
	s_clause 0x1
	s_load_b64 s[24:25], s[0:1], 0x0
	s_load_b64 s[4:5], s[0:1], 0x38
	s_delay_alu instid0(VALU_DEP_1) | instskip(NEXT) | instid1(VALU_DEP_1)
	v_sub_nc_u16 v0, v0, v1
	v_and_b32_e32 v29, 0xffff, v0
	v_cmp_gt_u16_e32 vcc_lo, 48, v0
	s_delay_alu instid0(VALU_DEP_2)
	v_lshlrev_b32_e32 v28, 2, v29
	v_or_b32_e32 v30, 0xc0, v29
	v_or_b32_e32 v27, 0x180, v29
	;; [unrolled: 1-line block ×3, first 2 shown]
	s_and_saveexec_b32 s3, vcc_lo
	s_cbranch_execz .LBB0_3
; %bb.2:
	s_load_b64 s[8:9], s[0:1], 0x18
	s_wait_kmcnt 0x0
	s_load_b128 s[8:11], s[8:9], 0x0
	s_clause 0x7
	global_load_b32 v18, v28, s[24:25]
	global_load_b32 v19, v28, s[24:25] offset:192
	global_load_b32 v20, v28, s[24:25] offset:384
	;; [unrolled: 1-line block ×7, first 2 shown]
	s_wait_kmcnt 0x0
	v_mad_co_u64_u32 v[0:1], null, s10, v13, 0
	v_mad_co_u64_u32 v[2:3], null, s8, v29, 0
	v_mad_co_u64_u32 v[4:5], null, s8, v30, 0
	v_mad_co_u64_u32 v[6:7], null, s8, v27, 0
	v_mad_co_u64_u32 v[8:9], null, s8, v26, 0
	s_delay_alu instid0(VALU_DEP_4) | instskip(NEXT) | instid1(VALU_DEP_4)
	v_mad_co_u64_u32 v[10:11], null, s11, v13, v[1:2]
	v_mad_co_u64_u32 v[11:12], null, s9, v29, v[3:4]
	s_delay_alu instid0(VALU_DEP_4) | instskip(NEXT) | instid1(VALU_DEP_4)
	v_mad_co_u64_u32 v[14:15], null, s9, v30, v[5:6]
	v_mad_co_u64_u32 v[15:16], null, s9, v27, v[7:8]
	s_delay_alu instid0(VALU_DEP_4) | instskip(SKIP_3) | instid1(VALU_DEP_4)
	v_mov_b32_e32 v1, v10
	v_mad_co_u64_u32 v[16:17], null, s9, v26, v[9:10]
	v_mov_b32_e32 v3, v11
	v_mov_b32_e32 v5, v14
	v_lshlrev_b64_e32 v[0:1], 2, v[0:1]
	v_mov_b32_e32 v7, v15
	s_mul_u64 s[10:11], s[8:9], 0xc0
	v_lshlrev_b64_e32 v[2:3], 2, v[2:3]
	v_mov_b32_e32 v9, v16
	s_clause 0x4
	global_load_b32 v10, v28, s[24:25] offset:1536
	global_load_b32 v12, v28, s[24:25] offset:1728
	;; [unrolled: 1-line block ×5, first 2 shown]
	v_add_co_u32 v11, s2, s6, v0
	v_lshlrev_b64_e32 v[6:7], 2, v[6:7]
	v_add_co_ci_u32_e64 v14, s2, s7, v1, s2
	v_lshlrev_b64_e32 v[0:1], 2, v[8:9]
	s_delay_alu instid0(VALU_DEP_4) | instskip(SKIP_1) | instid1(VALU_DEP_3)
	v_add_co_u32 v2, s2, v11, v2
	s_wait_alu 0xf1ff
	v_add_co_ci_u32_e64 v3, s2, v14, v3, s2
	v_add_co_u32 v6, s2, v11, v6
	s_wait_alu 0xf1ff
	v_add_co_ci_u32_e64 v7, s2, v14, v7, s2
	;; [unrolled: 3-line block ×3, first 2 shown]
	global_load_b32 v8, v[2:3], off
	s_wait_alu 0xfffe
	v_add_co_u32 v2, s2, v2, s10
	s_wait_alu 0xf1ff
	v_add_co_ci_u32_e64 v3, s2, s11, v3, s2
	s_clause 0x1
	global_load_b32 v9, v[6:7], off
	global_load_b32 v15, v[0:1], off
	v_add_co_u32 v0, s2, v2, s10
	s_wait_alu 0xf1ff
	v_add_co_ci_u32_e64 v1, s2, s11, v3, s2
	global_load_b32 v16, v[2:3], off
	v_lshlrev_b64_e32 v[4:5], 2, v[4:5]
	s_mul_i32 s6, s9, 0x180
	global_load_b32 v33, v[0:1], off
	v_add_co_u32 v2, s2, v0, s10
	s_wait_alu 0xf1ff
	v_add_co_ci_u32_e64 v3, s2, s11, v1, s2
	v_add_co_u32 v0, s2, v11, v4
	s_wait_alu 0xf1ff
	v_add_co_ci_u32_e64 v1, s2, v14, v5, s2
	s_delay_alu instid0(VALU_DEP_3)
	v_mad_co_u64_u32 v[6:7], null, 0x180, s8, v[2:3]
	s_clause 0x1
	global_load_b32 v11, v[2:3], off
	global_load_b32 v14, v[0:1], off
	s_wait_alu 0xfffe
	v_add_nc_u32_e32 v7, s6, v7
	v_add_co_u32 v0, s2, v6, s10
	s_wait_alu 0xf1ff
	s_delay_alu instid0(VALU_DEP_2) | instskip(NEXT) | instid1(VALU_DEP_2)
	v_add_co_ci_u32_e64 v1, s2, s11, v7, s2
	v_add_co_u32 v2, s2, v0, s10
	global_load_b32 v6, v[6:7], off
	s_wait_alu 0xf1ff
	v_add_co_ci_u32_e64 v3, s2, s11, v1, s2
	global_load_b32 v7, v[0:1], off
	v_mad_co_u64_u32 v[4:5], null, 0x180, s8, v[2:3]
	global_load_b32 v34, v[2:3], off
	v_add_nc_u32_e32 v5, s6, v5
	v_add_co_u32 v0, s2, v4, s10
	s_wait_alu 0xf1ff
	s_delay_alu instid0(VALU_DEP_2) | instskip(NEXT) | instid1(VALU_DEP_2)
	v_add_co_ci_u32_e64 v1, s2, s11, v5, s2
	v_add_co_u32 v2, s2, v0, s10
	global_load_b32 v4, v[4:5], off
	s_wait_alu 0xf1ff
	v_add_co_ci_u32_e64 v3, s2, s11, v1, s2
	global_load_b32 v0, v[0:1], off
	global_load_b32 v1, v[2:3], off
	v_add_nc_u32_e32 v2, 0x400, v28
	v_add_nc_u32_e32 v3, 0x600, v28
	s_wait_loadcnt 0x19
	v_lshrrev_b32_e32 v5, 16, v18
	s_wait_loadcnt 0x18
	v_lshrrev_b32_e32 v35, 16, v19
	;; [unrolled: 2-line block ×14, first 2 shown]
	v_mul_f16_e32 v48, v5, v8
	s_wait_loadcnt 0xb
	v_lshrrev_b32_e32 v49, 16, v9
	s_wait_loadcnt 0xa
	v_lshrrev_b32_e32 v51, 16, v15
	v_mul_f16_e32 v5, v5, v47
	v_fma_f16 v47, v18, v47, -v48
	v_mul_f16_e32 v52, v46, v15
	v_mul_f16_e32 v50, v42, v9
	s_wait_loadcnt 0x9
	v_lshrrev_b32_e32 v48, 16, v16
	v_mul_f16_e32 v53, v35, v16
	v_mul_f16_e32 v46, v46, v51
	v_fmac_f16_e32 v5, v18, v8
	v_mul_f16_e32 v42, v42, v49
	v_mul_f16_e32 v8, v35, v48
	v_fma_f16 v18, v19, v48, -v53
	s_wait_loadcnt 0x8
	v_lshrrev_b32_e32 v35, 16, v33
	v_fmac_f16_e32 v46, v32, v15
	v_mul_f16_e32 v48, v36, v33
	v_fmac_f16_e32 v8, v19, v16
	v_fmac_f16_e32 v42, v10, v9
	v_mul_f16_e32 v9, v36, v35
	s_wait_loadcnt 0x7
	v_lshrrev_b32_e32 v15, 16, v11
	v_mul_f16_e32 v16, v37, v11
	s_wait_loadcnt 0x6
	v_lshrrev_b32_e32 v19, 16, v14
	v_pack_b32_f16 v8, v8, v18
	v_fma_f16 v49, v10, v49, -v50
	v_mul_f16_e32 v18, v37, v15
	v_fma_f16 v50, v32, v51, -v52
	v_pack_b32_f16 v5, v5, v47
	v_mul_f16_e32 v32, v38, v14
	v_fma_f16 v15, v21, v15, -v16
	v_mul_f16_e32 v16, v38, v19
	v_fma_f16 v10, v20, v35, -v48
	v_fmac_f16_e32 v9, v20, v33
	v_fmac_f16_e32 v18, v21, v11
	v_fma_f16 v19, v22, v19, -v32
	ds_store_2addr_b32 v28, v5, v8 offset1:48
	s_wait_loadcnt 0x5
	v_lshrrev_b32_e32 v5, 16, v6
	v_fmac_f16_e32 v16, v22, v14
	v_pack_b32_f16 v8, v9, v10
	v_mul_f16_e32 v9, v39, v6
	v_pack_b32_f16 v10, v18, v15
	s_wait_loadcnt 0x4
	v_lshrrev_b32_e32 v15, 16, v7
	v_mul_f16_e32 v11, v39, v5
	v_pack_b32_f16 v14, v16, v19
	v_mul_f16_e32 v16, v40, v7
	v_fma_f16 v5, v23, v5, -v9
	v_mul_f16_e32 v9, v40, v15
	v_fmac_f16_e32 v11, v23, v6
	s_wait_loadcnt 0x3
	v_lshrrev_b32_e32 v6, 16, v34
	v_fma_f16 v15, v24, v15, -v16
	v_mul_f16_e32 v16, v41, v34
	v_fmac_f16_e32 v9, v24, v7
	v_pack_b32_f16 v5, v11, v5
	v_mul_f16_e32 v11, v41, v6
	v_pack_b32_f16 v35, v42, v49
	v_fma_f16 v6, v25, v6, -v16
	v_pack_b32_f16 v36, v46, v50
	s_delay_alu instid0(VALU_DEP_4)
	v_fmac_f16_e32 v11, v25, v34
	s_wait_loadcnt 0x2
	v_lshrrev_b32_e32 v7, 16, v4
	v_mul_f16_e32 v16, v43, v4
	s_wait_loadcnt 0x1
	v_lshrrev_b32_e32 v18, 16, v0
	s_wait_loadcnt 0x0
	v_lshrrev_b32_e32 v20, 16, v1
	v_mul_f16_e32 v19, v43, v7
	v_fma_f16 v7, v12, v7, -v16
	v_mul_f16_e32 v16, v44, v0
	v_mul_f16_e32 v21, v44, v18
	;; [unrolled: 1-line block ×4, first 2 shown]
	v_fmac_f16_e32 v19, v12, v4
	v_fma_f16 v4, v17, v18, -v16
	v_fmac_f16_e32 v21, v17, v0
	v_fma_f16 v0, v31, v20, -v22
	v_fmac_f16_e32 v23, v31, v1
	v_pack_b32_f16 v1, v9, v15
	v_pack_b32_f16 v6, v11, v6
	;; [unrolled: 1-line block ×5, first 2 shown]
	ds_store_2addr_b32 v28, v8, v10 offset0:96 offset1:144
	ds_store_2addr_b32 v28, v14, v5 offset0:192 offset1:240
	;; [unrolled: 1-line block ×5, first 2 shown]
	ds_store_b32 v28, v36 offset:2304
.LBB0_3:
	s_or_b32 exec_lo, exec_lo, s3
	s_load_b64 s[2:3], s[0:1], 0x20
	v_mov_b32_e32 v4, 0
                                        ; kill: def $vgpr0 killed $sgpr0 killed $exec
	global_wb scope:SCOPE_SE
	s_wait_dscnt 0x0
	s_wait_kmcnt 0x0
	s_barrier_signal -1
	s_barrier_wait -1
	global_inv scope:SCOPE_SE
                                        ; implicit-def: $vgpr12
                                        ; implicit-def: $vgpr1
                                        ; implicit-def: $vgpr3
                                        ; implicit-def: $vgpr7
                                        ; implicit-def: $vgpr9
                                        ; implicit-def: $vgpr11
	s_and_saveexec_b32 s6, vcc_lo
	s_cbranch_execz .LBB0_5
; %bb.4:
	v_add_nc_u32_e32 v0, 0x400, v28
	v_add_nc_u32_e32 v1, 0x600, v28
	ds_load_2addr_b32 v[4:5], v28 offset1:48
	ds_load_2addr_b32 v[10:11], v28 offset0:96 offset1:144
	ds_load_2addr_b32 v[8:9], v28 offset0:192 offset1:240
	;; [unrolled: 1-line block ×5, first 2 shown]
	ds_load_b32 v12, v28 offset:2304
.LBB0_5:
	s_wait_alu 0xfffe
	s_or_b32 exec_lo, exec_lo, s6
	s_wait_dscnt 0x0
	v_pk_add_f16 v14, v5, v12 neg_lo:[0,1] neg_hi:[0,1]
	v_pk_add_f16 v18, v12, v5
	v_pk_add_f16 v15, v10, v1 neg_lo:[0,1] neg_hi:[0,1]
	v_lshrrev_b32_e32 v31, 16, v4
	v_pk_add_f16 v20, v1, v10
	v_lshrrev_b32_e32 v52, 16, v14
	v_lshrrev_b32_e32 v58, 16, v18
	v_mul_f16_e32 v39, 0xb770, v14
	v_lshrrev_b32_e32 v53, 16, v15
	v_pk_add_f16 v16, v11, v0 neg_lo:[0,1] neg_hi:[0,1]
	v_mul_f16_e32 v36, 0xb770, v52
	v_pk_add_f16 v21, v0, v11
	v_fma_f16 v17, v58, 0x3b15, -v39
	v_lshrrev_b32_e32 v49, 16, v20
	v_mul_f16_e32 v32, 0xba95, v53
	v_fmamk_f16 v19, v18, 0x3b15, v36
	v_mul_f16_e32 v37, 0xba95, v15
	v_lshrrev_b32_e32 v54, 16, v16
	v_add_f16_e32 v22, v17, v31
	v_pk_add_f16 v17, v8, v3 neg_lo:[0,1] neg_hi:[0,1]
	v_fmamk_f16 v23, v20, 0x388b, v32
	v_add_f16_e32 v19, v19, v4
	v_fma_f16 v24, v49, 0x388b, -v37
	v_mul_f16_e32 v38, 0xbbf1, v54
	v_lshrrev_b32_e32 v50, 16, v21
	v_mul_f16_e32 v41, 0xbbf1, v16
	v_lshrrev_b32_e32 v55, 16, v17
	v_add_f16_e32 v19, v23, v19
	v_add_f16_e32 v22, v24, v22
	v_fmamk_f16 v24, v21, 0x2fb7, v38
	v_fma_f16 v25, v50, 0x2fb7, -v41
	v_pk_add_f16 v23, v3, v8
	v_mul_f16_e32 v40, 0xbb7b, v55
	v_mul_f16_e32 v44, 0xbb7b, v17
	v_add_f16_e32 v33, v24, v19
	v_pk_add_f16 v19, v9, v2 neg_lo:[0,1] neg_hi:[0,1]
	v_add_f16_e32 v34, v25, v22
	v_fmamk_f16 v22, v23, 0xb5ac, v40
	v_lshrrev_b32_e32 v51, 16, v23
	v_pk_add_f16 v24, v2, v9
	v_lshrrev_b32_e32 v56, 16, v19
	s_load_b64 s[0:1], s[0:1], 0x8
	v_add_f16_e32 v33, v22, v33
	v_pk_add_f16 v22, v6, v7 neg_lo:[0,1] neg_hi:[0,1]
	v_fma_f16 v35, v51, 0xb5ac, -v44
	v_mul_f16_e32 v42, 0xb94e, v56
	v_lshrrev_b32_e32 v48, 16, v24
	v_mul_f16_e32 v46, 0xb94e, v19
	v_lshrrev_b32_e32 v57, 16, v22
	v_pk_add_f16 v25, v7, v6
	v_add_f16_e32 v34, v35, v34
	v_fmamk_f16 v35, v24, 0xb9fd, v42
	v_fma_f16 v59, v48, 0xb9fd, -v46
	v_mul_f16_e32 v43, 0xb3a8, v57
	v_lshrrev_b32_e32 v47, 16, v25
	v_mul_f16_e32 v45, 0xb3a8, v22
	v_add_f16_e32 v33, v35, v33
	v_add_f16_e32 v35, v59, v34
	v_fmamk_f16 v34, v25, 0xbbc4, v43
	global_wb scope:SCOPE_SE
	v_fma_f16 v59, v47, 0xbbc4, -v45
	s_wait_kmcnt 0x0
	s_barrier_signal -1
	s_barrier_wait -1
	v_add_f16_e32 v34, v34, v33
	v_mul_lo_u16 v33, v29, 13
	v_add_f16_e32 v35, v59, v35
	global_inv scope:SCOPE_SE
	s_and_saveexec_b32 s6, vcc_lo
	s_cbranch_execz .LBB0_7
; %bb.6:
	v_mul_f16_e32 v59, 0xba95, v52
	v_mul_f16_e32 v62, 0x2fb7, v58
	;; [unrolled: 1-line block ×5, first 2 shown]
	v_fmamk_f16 v64, v18, 0x388b, v59
	v_fmamk_f16 v67, v14, 0x3bf1, v62
	;; [unrolled: 1-line block ×4, first 2 shown]
	v_mul_f16_e32 v71, 0xb5ac, v50
	v_add_f16_e32 v64, v64, v4
	v_add_f16_e32 v67, v67, v31
	v_mul_f16_e32 v72, 0x394e, v55
	v_mul_f16_e32 v73, 0x3b15, v51
	;; [unrolled: 1-line block ×3, first 2 shown]
	v_add_f16_e32 v64, v68, v64
	v_fmamk_f16 v68, v21, 0xbbc4, v69
	v_add_f16_e32 v67, v70, v67
	v_fmamk_f16 v70, v16, 0xbb7b, v71
	v_mul_f16_e32 v75, 0x388b, v48
	v_mul_f16_e32 v76, 0x3770, v57
	v_add_f16_e32 v64, v68, v64
	v_fmamk_f16 v68, v23, 0xb9fd, v72
	v_add_f16_e32 v67, v70, v67
	v_fmamk_f16 v70, v17, 0xb770, v73
	v_mul_f16_e32 v77, 0xb9fd, v47
	v_mul_f16_e32 v78, 0xb5ac, v58
	;; [unrolled: 6-line block ×3, first 2 shown]
	v_add_f16_e32 v64, v68, v64
	v_fmamk_f16 v68, v25, 0x3b15, v76
	v_add_f16_e32 v67, v70, v67
	v_fmamk_f16 v70, v22, 0x394e, v77
	v_mul_f16_e32 v81, 0x394e, v53
	v_fmamk_f16 v82, v15, 0xb94e, v80
	v_add_f16_e32 v64, v68, v64
	v_fmamk_f16 v68, v14, 0x3b7b, v78
	v_add_f16_e32 v67, v70, v67
	v_fmamk_f16 v70, v18, 0xb5ac, v79
	v_mul_f16_e32 v83, 0x3b15, v50
	v_fmamk_f16 v84, v20, 0xb9fd, v81
	v_add_f16_e32 v68, v68, v31
	v_mul_f16_e32 v85, 0x3770, v54
	v_add_f16_e32 v70, v70, v4
	v_mul_f16_e32 v86, 0x2fb7, v51
	v_mul_f16_e32 v87, 0xbbf1, v55
	v_add_f16_e32 v68, v82, v68
	v_fmamk_f16 v82, v16, 0xb770, v83
	v_add_f16_e32 v70, v84, v70
	v_fmamk_f16 v84, v21, 0x3b15, v85
	v_mul_f16_e32 v65, 0x3b15, v58
	v_mul_f16_e32 v58, 0xb9fd, v58
	v_add_f16_e32 v68, v82, v68
	v_fmamk_f16 v82, v17, 0x3bf1, v86
	v_add_f16_e32 v70, v84, v70
	v_fmamk_f16 v84, v23, 0x2fb7, v87
	v_mul_f16_e32 v88, 0x33a8, v56
	v_mul_f16_e32 v89, 0x2fb7, v49
	v_add_f16_e32 v68, v82, v68
	v_fmamk_f16 v82, v14, 0x394e, v58
	v_add_f16_e32 v70, v84, v70
	v_fmamk_f16 v84, v24, 0xbbc4, v88
	v_mul_f16_e32 v90, 0x3a95, v57
	v_alignbit_b32 v60, v4, v4, 16
	v_add_f16_e32 v82, v82, v31
	v_fmamk_f16 v91, v15, 0xbbf1, v89
	v_mul_f16_e32 v92, 0x388b, v50
	v_add_f16_e32 v70, v84, v70
	v_fmamk_f16 v84, v25, 0x388b, v90
	v_mul_f16_e32 v52, 0xb94e, v52
	;; [unrolled: 3-line block ×4, first 2 shown]
	v_pk_add_f16 v5, v5, v60 op_sel:[0,1] op_sel_hi:[1,0]
	v_add_f16_e32 v82, v91, v82
	v_fmamk_f16 v91, v17, 0xb3a8, v93
	v_mul_f16_e32 v94, 0x3b15, v48
	v_add_f16_e32 v84, v84, v4
	v_fmamk_f16 v95, v20, 0x2fb7, v53
	v_mul_f16_e32 v54, 0xba95, v54
	v_fmac_f16_e32 v58, 0xb94e, v14
	v_pk_add_f16 v5, v10, v5
	v_mul_f16_e32 v61, 0x3b15, v18
	v_add_f16_e32 v82, v91, v82
	v_fmamk_f16 v91, v19, 0xb770, v94
	v_mul_f16_e32 v96, 0xb5ac, v47
	v_add_f16_e32 v84, v95, v84
	v_fmamk_f16 v95, v21, 0x388b, v54
	v_mul_f16_e32 v55, 0x33a8, v55
	v_mul_f16_e32 v49, 0x388b, v49
	v_add_f16_e32 v58, v58, v31
	v_fmac_f16_e32 v89, 0x3bf1, v15
	v_fma_f16 v52, v18, 0xb9fd, -v52
	v_fmac_f16_e32 v78, 0xbb7b, v14
	v_fmac_f16_e32 v62, 0xbbf1, v14
	v_fma_f16 v59, v18, 0x388b, -v59
	v_add_f16_e32 v39, v39, v65
	v_pk_add_f16 v5, v11, v5
	v_mul_f16_e32 v97, 0x388b, v20
	v_add_f16_e32 v82, v91, v82
	v_fmamk_f16 v91, v22, 0x3b7b, v96
	v_add_f16_e32 v84, v95, v84
	v_fmamk_f16 v95, v23, 0xbbc4, v55
	v_mul_f16_e32 v56, 0x3770, v56
	v_add_f16_e32 v58, v89, v58
	v_fmac_f16_e32 v92, 0xba95, v16
	v_add_f16_e32 v52, v52, v4
	v_fma_f16 v53, v20, 0x2fb7, -v53
	v_add_f16_e32 v78, v78, v31
	v_fma_f16 v79, v18, 0xb5ac, -v79
	v_add_f16_e32 v62, v62, v31
	v_add_f16_e32 v59, v59, v4
	v_fma_f16 v63, v20, 0xb5ac, -v63
	v_add_f16_e32 v31, v39, v31
	v_add_f16_e32 v11, v37, v49
	v_sub_f16_e32 v36, v61, v36
	v_pk_add_f16 v5, v8, v5
	v_add_f16_e32 v82, v91, v82
	v_add_f16_e32 v84, v95, v84
	v_fmamk_f16 v91, v24, 0x3b15, v56
	v_mul_f16_e32 v57, 0xbb7b, v57
	v_mul_f16_e32 v95, 0x2fb7, v21
	v_add_f16_e32 v58, v92, v58
	v_fmac_f16_e32 v93, 0x33a8, v17
	v_add_f16_e32 v52, v53, v52
	v_fma_f16 v53, v21, 0x388b, -v54
	v_add_f16_e32 v79, v79, v4
	v_add_f16_e32 v59, v63, v59
	v_fma_f16 v63, v21, 0xbbc4, -v69
	v_add_f16_e32 v8, v11, v31
	v_add_f16_e32 v4, v36, v4
	v_sub_f16_e32 v31, v97, v32
	v_pk_add_f16 v5, v9, v5
	v_fmac_f16_e32 v80, 0x394e, v15
	v_mul_f16_e32 v50, 0x2fb7, v50
	v_add_f16_e32 v84, v91, v84
	v_fmamk_f16 v91, v25, 0xb5ac, v57
	v_mul_f16_e32 v89, 0xb5ac, v23
	v_add_f16_e32 v58, v93, v58
	v_fmac_f16_e32 v94, 0x3770, v19
	v_pk_mul_f16 v93, 0x388b2fb7, v18
	v_add_f16_e32 v52, v53, v52
	v_fma_f16 v55, v23, 0xbbc4, -v55
	v_add_f16_e32 v10, v63, v59
	v_fma_f16 v59, v23, 0xb9fd, -v72
	v_add_f16_e32 v4, v31, v4
	v_pk_add_f16 v5, v6, v5
	v_sub_f16_e32 v6, v95, v38
	v_add_f16_e32 v78, v80, v78
	v_fmac_f16_e32 v83, 0x3770, v16
	v_fma_f16 v81, v20, 0xb9fd, -v81
	v_mul_f16_e32 v51, 0xb5ac, v51
	v_add_f16_e32 v84, v91, v84
	v_mul_f16_e32 v91, 0xb9fd, v24
	v_add_f16_e32 v58, v94, v58
	v_pk_fma_f16 v94, 0xbbf1ba95, v14, v93 op_sel:[0,0,1] op_sel_hi:[1,1,0] neg_lo:[0,1,0] neg_hi:[0,1,0]
	v_fmac_f16_e32 v96, 0xbb7b, v22
	v_add_f16_e32 v52, v55, v52
	v_pk_mul_f16 v55, 0xb5acbbc4, v20
	v_fma_f16 v56, v24, 0x3b15, -v56
	v_pk_fma_f16 v93, 0xbbf1ba95, v14, v93 op_sel:[0,0,1] op_sel_hi:[1,1,0]
	v_add_f16_e32 v10, v59, v10
	v_fma_f16 v37, v24, 0x2fb7, -v74
	v_add_f16_e32 v11, v41, v50
	v_pk_add_f16 v5, v7, v5
	v_add_f16_e32 v4, v6, v4
	v_sub_f16_e32 v6, v89, v40
	v_mul_f16_e32 v92, 0xb9fd, v48
	v_add_f16_e32 v78, v83, v78
	v_fmac_f16_e32 v86, 0xbbf1, v17
	v_mul_f16_e32 v48, 0xbbc4, v48
	v_add_f16_e32 v79, v81, v79
	v_fma_f16 v81, v21, 0x3b15, -v85
	v_mul_f16_e32 v54, 0xbbc4, v25
	v_add_f16_e32 v58, v96, v58
	v_pk_fma_f16 v96, 0xb3a8bb7b, v15, v55 op_sel:[0,0,1] op_sel_hi:[1,1,0] neg_lo:[0,1,0] neg_hi:[0,1,0]
	v_add_f16_e32 v52, v56, v52
	v_pk_mul_f16 v56, 0xbbc4b5ac, v21
	v_fma_f16 v57, v25, 0xb5ac, -v57
	v_pk_fma_f16 v55, 0xb3a8bb7b, v15, v55 op_sel:[0,0,1] op_sel_hi:[1,1,0]
	v_add_f16_e32 v9, v37, v10
	v_add_f16_e32 v8, v11, v8
	;; [unrolled: 1-line block ×3, first 2 shown]
	v_pk_add_f16 v2, v2, v5
	v_bfi_b32 v5, 0xffff, v93, v94
	v_add_f16_e32 v4, v6, v4
	v_sub_f16_e32 v6, v91, v42
	v_mul_f16_e32 v53, 0xbbc4, v47
	v_add_f16_e32 v78, v86, v78
	v_fmamk_f16 v86, v19, 0xb3a8, v48
	v_fmac_f16_e32 v48, 0x33a8, v19
	v_add_f16_e32 v79, v81, v79
	v_fma_f16 v87, v23, 0x2fb7, -v87
	v_mul_f16_e32 v47, 0x388b, v47
	v_pk_mul_f16 v80, 0xb9fd3b15, v23
	v_add_f16_e32 v52, v57, v52
	v_pk_fma_f16 v57, 0x3b7bb3a8, v16, v56 op_sel:[0,0,1] op_sel_hi:[1,1,0] neg_lo:[0,1,0] neg_hi:[0,1,0]
	v_pk_fma_f16 v56, 0x3b7bb3a8, v16, v56 op_sel:[0,0,1] op_sel_hi:[1,1,0]
	v_fma_f16 v11, v25, 0x3b15, -v76
	v_add_f16_e32 v8, v10, v8
	v_add_f16_e32 v10, v46, v92
	v_pk_add_f16 v2, v3, v2
	v_pk_add_f16 v3, v5, v60
	v_bfi_b32 v5, 0xffff, v55, v96
	v_add_f16_e32 v4, v6, v4
	v_sub_f16_e32 v6, v54, v43
	v_add_f16_e32 v48, v48, v78
	v_add_f16_e32 v79, v87, v79
	v_fmamk_f16 v87, v22, 0x3a95, v47
	v_pk_fma_f16 v83, 0x3770394e, v17, v80 op_sel:[0,0,1] op_sel_hi:[1,1,0] neg_lo:[0,1,0] neg_hi:[0,1,0]
	v_pk_mul_f16 v81, 0x2fb7388b, v24
	v_pk_fma_f16 v80, 0x3770394e, v17, v80 op_sel:[0,0,1] op_sel_hi:[1,1,0]
	v_add_f16_e32 v7, v11, v9
	v_add_f16_e32 v8, v10, v8
	;; [unrolled: 1-line block ×3, first 2 shown]
	v_pk_add_f16 v0, v0, v2
	v_pk_add_f16 v2, v5, v3
	v_bfi_b32 v3, 0xffff, v56, v57
	v_add_f16_e32 v4, v6, v4
	v_and_b32_e32 v5, 0xffff, v33
	v_pk_mul_f16 v6, 0xbbc4, v18 op_sel_hi:[0,1]
	v_add_f16_e32 v48, v87, v48
	v_pk_add_f16 v87, v93, v60
	v_fmac_f16_e32 v66, 0xb3a8, v15
	v_pk_fma_f16 v78, 0xba953bf1, v19, v81 op_sel:[0,0,1] op_sel_hi:[1,1,0] neg_lo:[0,1,0] neg_hi:[0,1,0]
	v_pk_fma_f16 v81, 0xba953bf1, v19, v81 op_sel:[0,0,1] op_sel_hi:[1,1,0]
	v_add_f16_e32 v8, v9, v8
	v_pk_add_f16 v0, v1, v0
	v_pk_add_f16 v1, v3, v2
	v_bfi_b32 v2, 0xffff, v80, v83
	v_lshlrev_b32_e32 v3, 2, v5
	v_pk_fma_f16 v5, 0xb3a8, v14, v6 op_sel:[0,0,1] op_sel_hi:[0,1,0] neg_lo:[0,1,0] neg_hi:[0,1,0]
	v_pk_mul_f16 v9, 0x3b15, v20 op_sel_hi:[0,1]
	v_pk_fma_f16 v6, 0xb3a8, v14, v6 op_sel:[0,0,1] op_sel_hi:[0,1,0]
	v_fma_f16 v88, v24, 0xbbc4, -v88
	v_pk_add_f16 v87, v55, v87
	v_add_f16_e32 v62, v66, v62
	v_fmac_f16_e32 v71, 0x3b7b, v16
	v_pk_add_f16 v1, v2, v1
	v_bfi_b32 v2, 0xffff, v81, v78
	v_pk_add_f16 v5, v5, v60
	v_pk_fma_f16 v10, 0x3770, v15, v9 op_sel:[0,0,1] op_sel_hi:[0,1,0] neg_lo:[0,1,0] neg_hi:[0,1,0]
	v_pk_mul_f16 v11, 0xb9fd, v21 op_sel_hi:[0,1]
	v_pk_add_f16 v6, v6, v60
	v_pk_fma_f16 v9, 0x3770, v15, v9 op_sel:[0,0,1] op_sel_hi:[0,1,0]
	v_add_f16_e32 v85, v94, v60
	v_add_f16_e32 v79, v88, v79
	v_pk_mul_f16 v88, 0x3b15b9fd, v25
	v_pk_add_f16 v87, v56, v87
	v_add_f16_e32 v62, v71, v62
	v_fmac_f16_e32 v73, 0x3770, v17
	v_pack_b32_f16 v4, v4, v8
	v_pk_add_f16 v1, v2, v1
	v_pk_add_f16 v2, v10, v5
	v_pk_fma_f16 v5, 0xb94e, v16, v11 op_sel:[0,0,1] op_sel_hi:[0,1,0] neg_lo:[0,1,0] neg_hi:[0,1,0]
	v_pk_mul_f16 v8, 0x388b, v23 op_sel_hi:[0,1]
	v_pk_add_f16 v6, v9, v6
	v_pk_fma_f16 v9, 0xb94e, v16, v11 op_sel:[0,0,1] op_sel_hi:[0,1,0]
	v_add_f16_e32 v85, v96, v85
	v_pk_fma_f16 v66, 0xb94e3770, v22, v88 op_sel:[0,0,1] op_sel_hi:[1,1,0] neg_lo:[0,1,0] neg_hi:[0,1,0]
	v_pk_add_f16 v87, v80, v87
	v_add_f16_e32 v62, v73, v62
	v_mul_f16_e32 v73, 0x3a95, v22
	v_pk_fma_f16 v10, 0xb94e3770, v22, v88 op_sel:[0,0,1] op_sel_hi:[1,1,0]
	v_pk_add_f16 v0, v12, v0
	v_pk_add_f16 v2, v5, v2
	v_pk_fma_f16 v5, 0x3a95, v17, v8 op_sel:[0,0,1] op_sel_hi:[0,1,0] neg_lo:[0,1,0] neg_hi:[0,1,0]
	v_pk_mul_f16 v12, 0xb5ac, v24 op_sel_hi:[0,1]
	v_pk_add_f16 v6, v9, v6
	v_pk_fma_f16 v8, 0x3a95, v17, v8 op_sel:[0,0,1] op_sel_hi:[0,1,0]
	v_add_f16_e32 v85, v57, v85
	v_pk_mul_f16 v71, 0xb94e3770, v22
	v_fmac_f16_e32 v75, 0xba95, v19
	v_bfi_b32 v10, 0xffff, v10, v66
	v_bfi_b32 v9, 0xffff, v73, v87
	v_pk_add_f16 v2, v5, v2
	v_pk_fma_f16 v5, 0xbb7b, v19, v12 op_sel:[0,0,1] op_sel_hi:[0,1,0] neg_lo:[0,1,0] neg_hi:[0,1,0]
	v_pk_mul_f16 v11, 0x2fb7, v25 op_sel_hi:[0,1]
	v_pk_add_f16 v6, v8, v6
	v_pk_fma_f16 v8, 0xbb7b, v19, v12 op_sel:[0,0,1] op_sel_hi:[0,1,0]
	v_add_f16_e32 v85, v83, v85
	v_add_f16_e32 v62, v75, v62
	v_fmac_f16_e32 v77, 0xb94e, v22
	v_pk_add_f16 v1, v10, v1
	v_pack_b32_f16 v10, v86, v88
	v_bfi_b32 v12, 0xffff, v68, v71
	v_pk_add_f16 v9, v47, v9 neg_lo:[0,1] neg_hi:[0,1]
	v_pk_add_f16 v14, v81, v87
	v_fma_f16 v90, v25, 0x388b, -v90
	v_pk_add_f16 v2, v5, v2
	v_pk_fma_f16 v5, 0x3bf1, v22, v11 op_sel:[0,0,1] op_sel_hi:[0,1,0] neg_lo:[0,1,0] neg_hi:[0,1,0]
	v_pk_add_f16 v6, v8, v6
	v_pk_fma_f16 v8, 0x3bf1, v22, v11 op_sel:[0,0,1] op_sel_hi:[0,1,0]
	v_add_f16_e32 v85, v78, v85
	v_add_f16_e32 v62, v77, v62
	v_pk_add_f16 v10, v10, v12
	v_bfi_b32 v9, 0xffff, v9, v14
	v_add_f16_e32 v79, v90, v79
	v_pk_add_f16 v2, v5, v2
	v_pk_add_f16 v5, v8, v6
	v_add_f16_e32 v85, v66, v85
	v_alignbit_b32 v11, v62, v1, 16
	v_pack_b32_f16 v1, v7, v1
	v_pk_add_f16 v7, v9, v10
	v_pack_b32_f16 v6, v52, v58
	v_pack_b32_f16 v8, v79, v48
	v_alignbit_b32 v9, v2, v5, 16
	v_alignbit_b32 v2, v5, v2, 16
	v_pack_b32_f16 v5, v84, v82
	v_alignbit_b32 v10, v67, v7, 16
	v_pack_b32_f16 v7, v70, v7
	v_pack_b32_f16 v12, v64, v85
	v_perm_b32 v14, v35, v34, 0x5040100
	ds_store_2addr_b32 v3, v0, v4 offset1:1
	ds_store_2addr_b32 v3, v1, v11 offset0:2 offset1:3
	ds_store_2addr_b32 v3, v8, v6 offset0:4 offset1:5
	;; [unrolled: 1-line block ×3, first 2 shown]
	ds_store_b32 v3, v5 offset:32
	ds_store_2addr_b32 v3, v7, v10 offset0:9 offset1:10
	ds_store_2addr_b32 v3, v12, v14 offset0:11 offset1:12
.LBB0_7:
	s_wait_alu 0xfffe
	s_or_b32 exec_lo, exec_lo, s6
	v_and_b32_e32 v0, 0xff, v29
	v_add_nc_u16 v2, v29, 52
	v_add_nc_u16 v3, v29, 0x68
	s_load_b128 s[20:23], s[2:3], 0x0
	global_wb scope:SCOPE_SE
	s_wait_dscnt 0x0
	v_mul_lo_u16 v0, 0x4f, v0
	s_wait_kmcnt 0x0
	s_barrier_signal -1
	v_and_b32_e32 v1, 0xff, v3
	s_barrier_wait -1
	global_inv scope:SCOPE_SE
	v_lshrrev_b16 v22, 10, v0
	v_and_b32_e32 v0, 0xff, v2
	v_mul_lo_u16 v1, 0x4f, v1
	s_delay_alu instid0(VALU_DEP_3) | instskip(NEXT) | instid1(VALU_DEP_3)
	v_mul_lo_u16 v4, v22, 13
	v_mul_lo_u16 v0, 0x4f, v0
	s_delay_alu instid0(VALU_DEP_3) | instskip(SKIP_1) | instid1(VALU_DEP_4)
	v_lshrrev_b16 v24, 10, v1
	v_and_b32_e32 v36, 0xffff, v22
	v_sub_nc_u16 v4, v29, v4
	s_delay_alu instid0(VALU_DEP_4) | instskip(NEXT) | instid1(VALU_DEP_4)
	v_lshrrev_b16 v23, 10, v0
	v_mul_lo_u16 v5, v24, 13
	v_and_b32_e32 v24, 0xffff, v24
	v_mul_u32_u24_e32 v36, 52, v36
	v_and_b32_e32 v25, 0xff, v4
	v_mul_lo_u16 v4, v23, 13
	v_sub_nc_u16 v3, v3, v5
	v_and_b32_e32 v38, 0xffff, v23
	v_mul_u32_u24_e32 v24, 52, v24
	v_mad_co_u64_u32 v[0:1], null, v25, 12, s[0:1]
	v_sub_nc_u16 v2, v2, v4
	v_and_b32_e32 v37, 0xff, v3
	v_mul_u32_u24_e32 v38, 52, v38
	v_add_lshl_u32 v36, v36, v25, 2
	v_mad_co_u64_u32 v[22:23], null, v29, 20, s[0:1]
	v_and_b32_e32 v31, 0xff, v2
	global_load_b96 v[10:12], v[0:1], off
	v_mad_co_u64_u32 v[2:3], null, v37, 12, s[0:1]
	v_add_lshl_u32 v37, v24, v37, 2
	v_mad_co_u64_u32 v[0:1], null, v31, 12, s[0:1]
	v_add_lshl_u32 v38, v38, v31, 2
	s_clause 0x1
	global_load_b96 v[7:9], v[0:1], off
	global_load_b96 v[4:6], v[2:3], off
	v_and_b32_e32 v0, 0xffff, v29
	s_delay_alu instid0(VALU_DEP_1) | instskip(NEXT) | instid1(VALU_DEP_1)
	v_lshlrev_b32_e32 v32, 2, v0
	v_add_nc_u32_e32 v79, 0x400, v32
	v_add_nc_u32_e32 v78, 0x200, v32
	ds_load_2addr_b32 v[2:3], v32 offset0:104 offset1:156
	v_add_nc_u32_e32 v80, 0x800, v32
	ds_load_2addr_b32 v[0:1], v32 offset1:52
	ds_load_2addr_b32 v[14:15], v79 offset0:56 offset1:108
	ds_load_2addr_b32 v[16:17], v79 offset0:160 offset1:212
	;; [unrolled: 1-line block ×4, first 2 shown]
	global_wb scope:SCOPE_SE
	s_wait_loadcnt_dscnt 0x0
	s_barrier_signal -1
	s_barrier_wait -1
	global_inv scope:SCOPE_SE
	v_lshrrev_b32_e32 v49, 16, v3
	v_lshrrev_b32_e32 v25, 16, v14
	;; [unrolled: 1-line block ×15, first 2 shown]
	s_delay_alu instid0(VALU_DEP_3) | instskip(SKIP_1) | instid1(VALU_DEP_4)
	v_mul_f16_e32 v24, v49, v48
	v_mul_f16_e32 v31, v3, v48
	;; [unrolled: 1-line block ×6, first 2 shown]
	v_lshrrev_b32_e32 v45, 16, v7
	v_lshrrev_b32_e32 v44, 16, v8
	;; [unrolled: 1-line block ×6, first 2 shown]
	v_fma_f16 v3, v3, v10, -v24
	v_fmac_f16_e32 v31, v49, v10
	v_fma_f16 v14, v14, v11, -v59
	v_fmac_f16_e32 v60, v25, v11
	;; [unrolled: 2-line block ×3, first 2 shown]
	v_mul_f16_e32 v24, v53, v45
	v_mul_f16_e32 v25, v18, v45
	;; [unrolled: 1-line block ×12, first 2 shown]
	v_fma_f16 v18, v18, v7, -v24
	v_fmac_f16_e32 v25, v53, v7
	v_fma_f16 v15, v15, v8, -v49
	v_fmac_f16_e32 v52, v54, v8
	;; [unrolled: 2-line block ×6, first 2 shown]
	v_sub_f16_e32 v14, v0, v14
	v_sub_f16_e32 v24, v39, v60
	;; [unrolled: 1-line block ×12, first 2 shown]
	v_fma_f16 v0, v0, 2.0, -v14
	v_fma_f16 v39, v39, 2.0, -v24
	;; [unrolled: 1-line block ×4, first 2 shown]
	v_sub_f16_e32 v49, v14, v49
	v_add_f16_e32 v17, v24, v17
	v_fma_f16 v1, v1, 2.0, -v15
	v_fma_f16 v50, v50, 2.0, -v52
	v_fma_f16 v18, v18, 2.0, -v20
	v_fma_f16 v25, v25, 2.0, -v53
	v_add_f16_e32 v20, v52, v20
	v_fma_f16 v2, v2, 2.0, -v16
	v_fma_f16 v51, v51, 2.0, -v54
	;; [unrolled: 1-line block ×4, first 2 shown]
	v_sub_f16_e32 v3, v0, v3
	v_sub_f16_e32 v31, v39, v31
	;; [unrolled: 1-line block ×3, first 2 shown]
	v_fma_f16 v14, v14, 2.0, -v49
	v_fma_f16 v24, v24, 2.0, -v17
	v_sub_f16_e32 v18, v1, v18
	v_sub_f16_e32 v25, v50, v25
	;; [unrolled: 1-line block ×3, first 2 shown]
	v_add_f16_e32 v21, v54, v21
	v_pack_b32_f16 v17, v49, v17
	v_fma_f16 v49, v52, 2.0, -v20
	v_sub_f16_e32 v19, v2, v19
	v_sub_f16_e32 v52, v51, v56
	v_fma_f16 v0, v0, 2.0, -v3
	v_fma_f16 v39, v39, 2.0, -v31
	;; [unrolled: 1-line block ×3, first 2 shown]
	v_pack_b32_f16 v3, v3, v31
	v_pack_b32_f16 v14, v14, v24
	v_fma_f16 v1, v1, 2.0, -v18
	v_fma_f16 v24, v50, 2.0, -v25
	;; [unrolled: 1-line block ×6, first 2 shown]
	v_pack_b32_f16 v0, v0, v39
	v_pack_b32_f16 v20, v53, v20
	ds_store_2addr_b32 v36, v3, v17 offset0:26 offset1:39
	v_pack_b32_f16 v3, v15, v49
	v_pack_b32_f16 v15, v18, v25
	;; [unrolled: 1-line block ×7, first 2 shown]
	ds_store_2addr_b32 v36, v0, v14 offset1:13
	ds_store_2addr_b32 v38, v15, v20 offset0:26 offset1:39
	ds_store_2addr_b32 v38, v1, v3 offset1:13
	ds_store_2addr_b32 v37, v2, v16 offset1:13
	ds_store_2addr_b32 v37, v17, v21 offset0:26 offset1:39
	global_wb scope:SCOPE_SE
	s_wait_dscnt 0x0
	s_barrier_signal -1
	s_barrier_wait -1
	global_inv scope:SCOPE_SE
	s_clause 0x1
	global_load_b128 v[0:3], v[22:23], off offset:156
	global_load_b32 v39, v[22:23], off offset:172
	ds_load_2addr_b32 v[14:15], v32 offset1:52
	ds_load_2addr_b32 v[16:17], v32 offset0:104 offset1:156
	ds_load_2addr_b32 v[18:19], v78 offset0:80 offset1:132
	;; [unrolled: 1-line block ×5, first 2 shown]
	v_lshlrev_b32_e32 v31, 4, v29
	global_wb scope:SCOPE_SE
	s_wait_loadcnt_dscnt 0x0
	s_barrier_signal -1
	s_barrier_wait -1
	global_inv scope:SCOPE_SE
	v_sub_co_u32 v22, s0, v22, v31
	s_wait_alu 0xf1ff
	v_subrev_co_ci_u32_e64 v23, s0, 0, v23, s0
	v_lshrrev_b32_e32 v31, 16, v14
	v_lshrrev_b32_e32 v51, 16, v16
	;; [unrolled: 1-line block ×17, first 2 shown]
	v_mul_f16_e32 v69, v52, v63
	v_mul_f16_e32 v70, v18, v63
	;; [unrolled: 1-line block ×19, first 2 shown]
	v_fma_f16 v18, v18, v1, -v69
	v_fmac_f16_e32 v70, v52, v1
	v_fma_f16 v20, v20, v2, -v71
	v_fmac_f16_e32 v72, v53, v2
	;; [unrolled: 2-line block ×4, first 2 shown]
	v_mul_f16_e32 v86, v64, v59
	v_fma_f16 v16, v16, v0, -v67
	v_fmac_f16_e32 v68, v51, v0
	v_fmac_f16_e32 v83, v60, v1
	v_fma_f16 v21, v21, v2, -v84
	v_fmac_f16_e32 v85, v62, v2
	v_fmac_f16_e32 v87, v64, v3
	v_fma_f16 v50, v50, v39, -v88
	v_fmac_f16_e32 v89, v66, v39
	v_fma_f16 v17, v17, v0, -v77
	;; [unrolled: 2-line block ×3, first 2 shown]
	v_add_f16_e32 v52, v18, v24
	v_add_f16_e32 v55, v70, v74
	;; [unrolled: 1-line block ×4, first 2 shown]
	v_fma_f16 v25, v25, v3, -v86
	v_add_f16_e32 v51, v14, v18
	v_sub_f16_e32 v53, v70, v74
	v_add_f16_e32 v54, v31, v70
	v_add_f16_e32 v58, v16, v20
	v_sub_f16_e32 v62, v72, v76
	v_add_f16_e32 v64, v68, v72
	v_sub_f16_e32 v70, v83, v87
	v_add_f16_e32 v71, v56, v83
	v_add_f16_e32 v72, v83, v87
	;; [unrolled: 1-line block ×4, first 2 shown]
	v_sub_f16_e32 v18, v18, v24
	v_sub_f16_e32 v20, v20, v49
	v_add_f16_e32 v67, v15, v19
	v_add_f16_e32 v73, v17, v21
	;; [unrolled: 1-line block ×3, first 2 shown]
	v_fma_f16 v14, -0.5, v52, v14
	v_fmac_f16_e32 v31, -0.5, v55
	v_fmac_f16_e32 v16, -0.5, v60
	;; [unrolled: 1-line block ×3, first 2 shown]
	v_add_f16_e32 v69, v19, v25
	v_sub_f16_e32 v19, v19, v25
	v_sub_f16_e32 v77, v85, v89
	;; [unrolled: 1-line block ×3, first 2 shown]
	v_add_f16_e32 v24, v51, v24
	v_add_f16_e32 v51, v54, v74
	;; [unrolled: 1-line block ×4, first 2 shown]
	v_fmac_f16_e32 v56, -0.5, v72
	v_fmac_f16_e32 v17, -0.5, v75
	;; [unrolled: 1-line block ×3, first 2 shown]
	v_add_f16_e32 v25, v67, v25
	v_add_f16_e32 v54, v71, v87
	;; [unrolled: 1-line block ×4, first 2 shown]
	v_fmamk_f16 v58, v53, 0x3aee, v14
	v_fmac_f16_e32 v14, 0xbaee, v53
	v_fmamk_f16 v53, v18, 0xbaee, v31
	v_fmac_f16_e32 v31, 0x3aee, v18
	v_fmamk_f16 v18, v62, 0x3aee, v16
	v_fmamk_f16 v60, v20, 0xbaee, v68
	v_fmac_f16_e32 v16, 0xbaee, v62
	v_fmac_f16_e32 v68, 0x3aee, v20
	v_fmac_f16_e32 v15, -0.5, v69
	v_add_f16_e32 v20, v24, v49
	v_add_f16_e32 v62, v51, v52
	v_sub_f16_e32 v24, v24, v49
	v_sub_f16_e32 v49, v51, v52
	v_fmamk_f16 v52, v19, 0xbaee, v56
	v_fmac_f16_e32 v56, 0x3aee, v19
	v_fmamk_f16 v19, v77, 0x3aee, v17
	v_fmamk_f16 v64, v21, 0xbaee, v81
	v_fmac_f16_e32 v17, 0xbaee, v77
	v_fmac_f16_e32 v81, 0x3aee, v21
	v_add_f16_e32 v21, v25, v50
	v_add_f16_e32 v66, v54, v55
	v_sub_f16_e32 v25, v25, v50
	v_sub_f16_e32 v50, v54, v55
	v_mul_f16_e32 v54, 0x3aee, v60
	v_mul_f16_e32 v67, 0xbaee, v18
	v_mul_f16_e32 v55, -0.5, v16
	v_mul_f16_e32 v69, -0.5, v68
	v_fmamk_f16 v51, v70, 0x3aee, v15
	v_fmac_f16_e32 v15, 0xbaee, v70
	v_mul_f16_e32 v70, 0x3aee, v64
	v_mul_f16_e32 v72, 0xbaee, v19
	v_mul_f16_e32 v71, -0.5, v17
	v_mul_f16_e32 v73, -0.5, v81
	v_fmac_f16_e32 v54, 0.5, v18
	v_fmac_f16_e32 v67, 0.5, v60
	v_fmac_f16_e32 v55, 0x3aee, v68
	v_fmac_f16_e32 v69, 0xbaee, v16
	v_fmac_f16_e32 v70, 0.5, v19
	v_fmac_f16_e32 v72, 0.5, v64
	v_fmac_f16_e32 v71, 0x3aee, v81
	v_fmac_f16_e32 v73, 0xbaee, v17
	v_add_f16_e32 v16, v58, v54
	v_add_f16_e32 v18, v53, v67
	;; [unrolled: 1-line block ×4, first 2 shown]
	v_pack_b32_f16 v24, v24, v49
	v_pack_b32_f16 v25, v25, v50
	v_sub_f16_e32 v49, v58, v54
	v_sub_f16_e32 v14, v14, v55
	;; [unrolled: 1-line block ×4, first 2 shown]
	v_add_f16_e32 v53, v51, v70
	v_add_f16_e32 v55, v52, v72
	;; [unrolled: 1-line block ×4, first 2 shown]
	v_sub_f16_e32 v51, v51, v70
	v_sub_f16_e32 v52, v52, v72
	v_pack_b32_f16 v20, v20, v62
	v_sub_f16_e32 v15, v15, v71
	v_sub_f16_e32 v56, v56, v73
	v_pack_b32_f16 v16, v16, v18
	v_pack_b32_f16 v17, v17, v19
	v_pack_b32_f16 v18, v49, v50
	v_pack_b32_f16 v14, v14, v31
	v_pack_b32_f16 v21, v21, v66
	v_pack_b32_f16 v19, v53, v55
	v_pack_b32_f16 v31, v54, v58
	v_pack_b32_f16 v49, v51, v52
	v_pack_b32_f16 v15, v15, v56
	ds_store_2addr_b32 v32, v20, v16 offset1:52
	ds_store_2addr_b32 v32, v17, v24 offset0:104 offset1:156
	ds_store_2addr_b32 v78, v18, v14 offset0:80 offset1:132
	;; [unrolled: 1-line block ×5, first 2 shown]
	global_wb scope:SCOPE_SE
	s_wait_dscnt 0x0
	s_barrier_signal -1
	s_barrier_wait -1
	global_inv scope:SCOPE_SE
	s_clause 0x5
	global_load_b32 v49, v[22:23], off offset:1196
	global_load_b32 v52, v[22:23], off offset:1404
	;; [unrolled: 1-line block ×6, first 2 shown]
	ds_load_2addr_b32 v[70:71], v32 offset1:52
	ds_load_2addr_b32 v[14:15], v79 offset0:56 offset1:108
	ds_load_2addr_b32 v[81:82], v32 offset0:104 offset1:156
	;; [unrolled: 1-line block ×5, first 2 shown]
	v_lshlrev_b32_e32 v31, 2, v29
	s_wait_dscnt 0x5
	v_lshrrev_b32_e32 v20, 16, v70
	s_wait_dscnt 0x4
	v_lshrrev_b32_e32 v21, 16, v14
	v_lshrrev_b32_e32 v23, 16, v15
	s_wait_dscnt 0x2
	v_lshrrev_b32_e32 v24, 16, v16
	;; [unrolled: 3-line block ×3, first 2 shown]
	v_lshrrev_b32_e32 v67, 16, v19
	v_lshrrev_b32_e32 v22, 16, v71
	v_lshrrev_b32_e32 v74, 16, v81
	v_lshrrev_b32_e32 v85, 16, v82
	v_lshrrev_b32_e32 v86, 16, v83
	v_lshrrev_b32_e32 v87, 16, v84
	s_wait_loadcnt 0x5
	v_lshrrev_b32_e32 v64, 16, v49
	s_wait_loadcnt 0x4
	v_lshrrev_b32_e32 v62, 16, v52
	;; [unrolled: 2-line block ×6, first 2 shown]
	v_mul_f16_e32 v68, v21, v64
	v_mul_f16_e32 v69, v14, v64
	;; [unrolled: 1-line block ×12, first 2 shown]
	v_fma_f16 v14, v14, v49, -v68
	v_fmac_f16_e32 v69, v21, v49
	v_fma_f16 v21, v15, v52, -v72
	v_fmac_f16_e32 v73, v23, v52
	;; [unrolled: 2-line block ×6, first 2 shown]
	v_sub_f16_e32 v15, v70, v14
	v_sub_f16_e32 v75, v20, v69
	;; [unrolled: 1-line block ×12, first 2 shown]
	v_fma_f16 v14, v70, 2.0, -v15
	v_fma_f16 v68, v20, 2.0, -v75
	;; [unrolled: 1-line block ×8, first 2 shown]
	v_pack_b32_f16 v81, v15, v75
	v_pack_b32_f16 v82, v25, v73
	v_fma_f16 v18, v83, 2.0, -v19
	v_fma_f16 v71, v86, 2.0, -v67
	v_fma_f16 v16, v84, 2.0, -v17
	v_fma_f16 v70, v87, 2.0, -v66
	v_pack_b32_f16 v83, v23, v72
	v_pack_b32_f16 v84, v21, v69
	;; [unrolled: 1-line block ×6, first 2 shown]
	ds_store_2addr_b32 v79, v81, v82 offset0:56 offset1:108
	v_pack_b32_f16 v81, v22, v76
	v_pack_b32_f16 v82, v20, v74
	;; [unrolled: 1-line block ×4, first 2 shown]
	ds_store_2addr_b32 v79, v83, v84 offset0:160 offset1:212
	ds_store_2addr_b32 v80, v85, v86 offset0:8 offset1:60
	ds_store_2addr_b32 v32, v87, v88 offset1:52
	ds_store_2addr_b32 v32, v81, v82 offset0:104 offset1:156
	ds_store_2addr_b32 v78, v89, v90 offset0:80 offset1:132
	global_wb scope:SCOPE_SE
	s_wait_dscnt 0x0
	s_barrier_signal -1
	s_barrier_wait -1
	global_inv scope:SCOPE_SE
	s_and_saveexec_b32 s2, vcc_lo
	s_cbranch_execz .LBB0_9
; %bb.8:
	global_load_b32 v78, v28, s[24:25] offset:2496
	s_add_nc_u64 s[0:1], s[24:25], 0x9c0
	s_clause 0xb
	global_load_b32 v90, v28, s[0:1] offset:192
	global_load_b32 v91, v28, s[0:1] offset:384
	;; [unrolled: 1-line block ×12, first 2 shown]
	ds_load_b32 v79, v32
	v_add_nc_u32_e32 v102, 0x200, v31
	v_add_nc_u32_e32 v103, 0x400, v31
	;; [unrolled: 1-line block ×3, first 2 shown]
	s_wait_dscnt 0x0
	v_lshrrev_b32_e32 v80, 16, v79
	s_wait_loadcnt 0xb
	v_lshrrev_b32_e32 v105, 16, v90
	s_wait_loadcnt 0xa
	;; [unrolled: 2-line block ×8, first 2 shown]
	v_lshrrev_b32_e32 v112, 16, v97
	v_lshrrev_b32_e32 v81, 16, v78
	s_wait_loadcnt 0x3
	v_lshrrev_b32_e32 v113, 16, v98
	s_wait_loadcnt 0x2
	;; [unrolled: 2-line block ×4, first 2 shown]
	v_lshrrev_b32_e32 v116, 16, v101
	v_mul_f16_e32 v82, v80, v81
	v_mul_f16_e32 v81, v79, v81
	s_delay_alu instid0(VALU_DEP_2) | instskip(NEXT) | instid1(VALU_DEP_2)
	v_fma_f16 v79, v79, v78, -v82
	v_fmac_f16_e32 v81, v80, v78
	s_delay_alu instid0(VALU_DEP_1)
	v_pack_b32_f16 v78, v79, v81
	ds_store_b32 v32, v78
	ds_load_2addr_b32 v[78:79], v31 offset0:48 offset1:96
	ds_load_2addr_b32 v[80:81], v31 offset0:144 offset1:192
	;; [unrolled: 1-line block ×6, first 2 shown]
	s_wait_dscnt 0x5
	v_lshrrev_b32_e32 v117, 16, v78
	v_lshrrev_b32_e32 v119, 16, v79
	s_wait_dscnt 0x4
	v_lshrrev_b32_e32 v121, 16, v80
	v_lshrrev_b32_e32 v123, 16, v81
	;; [unrolled: 3-line block ×5, first 2 shown]
	v_mul_f16_e32 v118, v78, v105
	v_mul_f16_e32 v120, v79, v106
	s_wait_dscnt 0x0
	v_lshrrev_b32_e32 v137, 16, v88
	v_lshrrev_b32_e32 v139, 16, v89
	v_mul_f16_e32 v105, v117, v105
	v_mul_f16_e32 v106, v119, v106
	;; [unrolled: 1-line block ×7, first 2 shown]
	v_mul_f16_e64 v128, v83, v110
	v_mul_f16_e32 v109, v125, v109
	v_mul_f16_e32 v110, v127, v110
	v_mul_f16_e64 v130, v84, v111
	v_mul_f16_e64 v132, v85, v112
	;; [unrolled: 1-line block ×10, first 2 shown]
	v_fmac_f16_e32 v118, v117, v90
	v_fmac_f16_e32 v120, v119, v91
	v_mul_f16_e64 v115, v137, v115
	v_mul_f16_e64 v116, v139, v116
	v_fma_f16 v78, v78, v90, -v105
	v_fma_f16 v79, v79, v91, -v106
	v_fmac_f16_e32 v122, v121, v92
	v_fmac_f16_e32 v124, v123, v93
	v_fma_f16 v80, v80, v92, -v107
	v_fma_f16 v81, v81, v93, -v108
	v_fmac_f16_e32 v126, v125, v94
	v_fmac_f16_e64 v128, v127, v95
	v_fma_f16 v82, v82, v94, -v109
	v_fma_f16 v83, v83, v95, -v110
	v_fmac_f16_e64 v130, v129, v96
	v_fmac_f16_e64 v132, v131, v97
	v_fma_f16 v84, v84, v96, -v111
	v_fma_f16 v85, v85, v97, -v112
	v_fmac_f16_e64 v134, v133, v98
	;; [unrolled: 4-line block ×3, first 2 shown]
	v_fmac_f16_e64 v140, v139, v101
	v_fma_f16 v88, v88, v100, -v115
	v_fma_f16 v89, v89, v101, -v116
	v_pack_b32_f16 v78, v78, v118
	v_pack_b32_f16 v79, v79, v120
	;; [unrolled: 1-line block ×12, first 2 shown]
	ds_store_2addr_b32 v31, v78, v79 offset0:48 offset1:96
	ds_store_2addr_b32 v31, v80, v81 offset0:144 offset1:192
	;; [unrolled: 1-line block ×6, first 2 shown]
.LBB0_9:
	s_wait_alu 0xfffe
	s_or_b32 exec_lo, exec_lo, s2
	global_wb scope:SCOPE_SE
	s_wait_dscnt 0x0
	s_barrier_signal -1
	s_barrier_wait -1
	global_inv scope:SCOPE_SE
	s_and_saveexec_b32 s0, vcc_lo
	s_cbranch_execz .LBB0_11
; %bb.10:
	v_add_nc_u32_e32 v16, 0x400, v32
	v_add_nc_u32_e32 v17, 0x600, v32
	ds_load_2addr_b32 v[14:15], v32 offset1:48
	ds_load_2addr_b32 v[24:25], v32 offset0:96 offset1:144
	ds_load_2addr_b32 v[22:23], v32 offset0:192 offset1:240
	;; [unrolled: 1-line block ×5, first 2 shown]
	ds_load_b32 v34, v32 offset:2304
	s_wait_dscnt 0x5
	v_lshrrev_b32_e32 v77, 16, v24
	v_lshrrev_b32_e32 v68, 16, v14
	;; [unrolled: 1-line block ×4, first 2 shown]
	s_wait_dscnt 0x4
	v_lshrrev_b32_e32 v76, 16, v22
	v_lshrrev_b32_e32 v72, 16, v23
	s_wait_dscnt 0x3
	v_lshrrev_b32_e32 v74, 16, v20
	v_lshrrev_b32_e32 v69, 16, v21
	;; [unrolled: 3-line block ×4, first 2 shown]
	s_wait_dscnt 0x0
	v_lshrrev_b32_e32 v35, 16, v34
.LBB0_11:
	s_wait_alu 0xfffe
	s_or_b32 exec_lo, exec_lo, s0
	global_wb scope:SCOPE_SE
	s_barrier_signal -1
	s_barrier_wait -1
	global_inv scope:SCOPE_SE
	s_and_saveexec_b32 s0, vcc_lo
	s_cbranch_execz .LBB0_13
; %bb.12:
	v_sub_f16_e32 v82, v15, v34
	v_add_f16_e32 v100, v35, v75
	v_sub_f16_e32 v80, v24, v17
	v_add_f16_e32 v98, v66, v77
	v_sub_f16_e32 v78, v25, v16
	v_mul_f16_e32 v108, 0xba95, v82
	v_add_f16_e32 v97, v70, v73
	v_mul_f16_e32 v109, 0xbb7b, v80
	v_sub_f16_e32 v79, v22, v19
	v_mul_f16_e32 v110, 0xb3a8, v78
	v_fmamk_f16 v83, v100, 0x388b, v108
	v_add_f16_e32 v95, v67, v76
	v_fmamk_f16 v84, v98, 0xb5ac, v109
	v_sub_f16_e32 v81, v23, v18
	v_sub_f16_e32 v101, v75, v35
	v_add_f16_e32 v83, v68, v83
	v_mul_f16_e32 v111, 0x394e, v79
	v_fmamk_f16 v86, v97, 0xbbc4, v110
	v_add_f16_e32 v93, v71, v72
	v_add_f16_e32 v85, v34, v15
	;; [unrolled: 1-line block ×3, first 2 shown]
	v_sub_f16_e32 v102, v77, v66
	v_mul_f16_e32 v112, 0x3bf1, v81
	v_mul_f16_e32 v113, 0xba95, v101
	v_fmamk_f16 v84, v95, 0xb9fd, v111
	v_add_f16_e32 v83, v86, v83
	v_add_f16_e32 v86, v17, v24
	v_mul_f16_e32 v107, 0xbb7b, v102
	v_fmamk_f16 v87, v93, 0x2fb7, v112
	v_fma_f16 v88, v85, 0x388b, -v113
	v_add_f16_e32 v84, v84, v83
	v_sub_f16_e32 v105, v73, v70
	v_sub_f16_e32 v83, v20, v21
	v_fma_f16 v89, v86, 0xb5ac, -v107
	v_add_f16_e32 v88, v14, v88
	v_add_f16_e32 v84, v87, v84
	;; [unrolled: 1-line block ×3, first 2 shown]
	v_mul_f16_e32 v114, 0xb3a8, v105
	v_sub_f16_e32 v96, v76, v67
	v_mul_f16_e32 v115, 0x3770, v83
	v_add_f16_e32 v94, v69, v74
	v_add_f16_e32 v89, v89, v88
	v_fma_f16 v90, v87, 0xbbc4, -v114
	v_add_f16_e32 v88, v19, v22
	v_mul_f16_e32 v116, 0x394e, v96
	v_fmamk_f16 v91, v94, 0x3b15, v115
	v_mul_f16_e32 v117, 0xbbf1, v82
	v_add_f16_e32 v90, v90, v89
	v_mul_f16_e32 v119, 0xb3a8, v80
	v_fma_f16 v92, v88, 0xb9fd, -v116
	v_add_f16_e32 v84, v91, v84
	v_mul_f16_e32 v121, 0x3b7b, v78
	v_sub_f16_e32 v99, v72, v71
	v_fmamk_f16 v106, v98, 0xbbc4, v119
	v_add_f16_e32 v91, v92, v90
	v_fmamk_f16 v92, v100, 0x2fb7, v117
	v_mul_f16_e32 v123, 0x3770, v79
	v_add_f16_e32 v89, v18, v23
	v_mul_f16_e32 v118, 0x3bf1, v99
	v_sub_f16_e32 v103, v74, v69
	v_add_f16_e32 v92, v68, v92
	v_mul_f16_e32 v125, 0xba95, v81
	v_add_f16_e32 v90, v21, v20
	v_fma_f16 v104, v89, 0x2fb7, -v118
	v_mul_f16_e32 v120, 0x3770, v103
	v_add_f16_e32 v92, v106, v92
	v_fmamk_f16 v106, v97, 0xb5ac, v121
	v_mul_f16_e64 v128, 0xb94e, v83
	v_add_f16_e32 v91, v104, v91
	v_fma_f16 v104, v90, 0x3b15, -v120
	v_mul_f16_e32 v122, 0xbbf1, v101
	v_add_f16_e32 v92, v106, v92
	v_fmamk_f16 v106, v95, 0x3b15, v123
	v_mul_f16_e64 v130, 0xbb7b, v82
	;; [unrolled: 6-line block ×3, first 2 shown]
	v_add_f16_e32 v104, v14, v104
	v_fma_f16 v126, v86, 0xbbc4, -v124
	v_mul_f16_e32 v127, 0x3b7b, v105
	v_add_f16_e32 v92, v106, v92
	v_fma_f16 v106, 0xb9fd, v94, v128
	v_fma_f16 v134, 0xb9fd, v98, v132
	v_mul_f16_e64 v135, 0x3770, v78
	v_add_f16_e32 v104, v126, v104
	v_fma_f16 v126, v87, 0xb5ac, -v127
	v_add_f16_e32 v92, v106, v92
	v_fma_f16 v106, 0xb5ac, v100, v130
	v_mul_f16_e64 v129, 0x3770, v96
	v_mul_f16_e64 v137, 0xbbf1, v79
	v_add_f16_e32 v104, v126, v104
	v_mul_f16_e64 v131, 0xba95, v99
	v_add_f16_e32 v106, v68, v106
	v_fma_f16 v126, v88, 0x3b15, -v129
	v_mul_f16_e64 v139, 0x33a8, v81
	v_mul_f16_e64 v133, 0xb94e, v103
	;; [unrolled: 1-line block ×3, first 2 shown]
	v_add_f16_e64 v106, v134, v106
	v_fma_f16 v134, 0x3b15, v97, v135
	v_add_f16_e32 v104, v126, v104
	v_fma_f16 v126, v89, 0x388b, -v131
	v_mul_f16_e64 v136, 0xbb7b, v101
	v_mul_f16_e64 v144, 0xb94e, v82
	v_add_f16_e64 v106, v134, v106
	v_fma_f16 v134, 0x2fb7, v95, v137
	v_add_f16_e32 v104, v126, v104
	v_fma_f16 v126, v90, 0xb9fd, -v133
	v_mul_f16_e64 v138, 0x394e, v102
	v_mul_f16_e64 v146, 0x3bf1, v80
	v_add_f16_e64 v106, v134, v106
	v_fma_f16 v134, 0xbbc4, v93, v139
	v_add_f16_e32 v104, v126, v104
	v_fma_f16 v126, v85, 0xb5ac, -v136
	v_fma_f16 v140, v86, 0xb9fd, -v138
	v_mul_f16_e64 v141, 0x3770, v105
	v_add_f16_e64 v106, v134, v106
	v_fma_f16 v134, 0x388b, v94, v142
	v_add_f16_e32 v126, v14, v126
	v_fma_f16 v148, 0x2fb7, v98, v146
	v_mul_f16_e64 v149, 0xba95, v78
	v_mul_f16_e64 v143, 0xbbf1, v96
	v_add_f16_e64 v106, v134, v106
	v_fma_f16 v134, 0xb9fd, v100, v144
	v_add_f16_e64 v126, v140, v126
	v_fma_f16 v140, v87, 0x3b15, -v141
	v_mul_f16_e64 v151, 0x33a8, v79
	v_fma_f16 v108, v100, 0x388b, -v108
	v_add_f16_e64 v134, v68, v134
	v_mul_f16_e64 v145, 0x33a8, v99
	v_add_f16_e64 v126, v140, v126
	v_fma_f16 v140, v88, 0x2fb7, -v143
	v_mul_f16_e64 v153, 0x3770, v81
	v_add_f16_e64 v134, v148, v134
	v_fma_f16 v148, 0x388b, v97, v149
	v_add_f16_e32 v108, v68, v108
	v_fma_f16 v109, v98, 0xb5ac, -v109
	v_add_f16_e64 v126, v140, v126
	v_fma_f16 v140, v89, 0xbbc4, -v145
	v_add_f16_e64 v134, v148, v134
	v_fma_f16 v148, 0xbbc4, v95, v151
	v_mul_f16_e64 v147, 0x3a95, v103
	v_mul_f16_e64 v156, 0xbb7b, v83
	v_add_f16_e32 v108, v109, v108
	v_fma_f16 v109, v97, 0xbbc4, -v110
	v_add_f16_e64 v134, v148, v134
	v_fma_f16 v148, 0x3b15, v93, v153
	v_add_f16_e64 v126, v140, v126
	v_fma_f16 v140, v90, 0x388b, -v147
	v_mul_f16_e64 v150, 0xb94e, v101
	v_mul_f16_e64 v158, 0xb3a8, v82
	v_add_f16_e64 v134, v148, v134
	v_fma_f16 v148, 0xb5ac, v94, v156
	v_add_f16_e32 v108, v109, v108
	v_fma_f16 v109, v95, 0xb9fd, -v111
	v_add_f16_e64 v126, v140, v126
	v_fma_f16 v140, v85, 0xb9fd, -v150
	v_mul_f16_e64 v152, 0x3bf1, v102
	v_add_f16_e64 v134, v148, v134
	v_fma_f16 v148, 0xbbc4, v100, v158
	v_mul_f16_e64 v160, 0x3770, v80
	v_fma_f16 v158, v100, 0xbbc4, -v158
	v_fma_f16 v144, v100, 0xb9fd, -v144
	;; [unrolled: 1-line block ×4, first 2 shown]
	v_fmac_f16_e32 v113, 0x388b, v85
	v_add_f16_e32 v108, v109, v108
	v_fma_f16 v109, v93, 0x2fb7, -v112
	v_mul_f16_e32 v100, 0x3b15, v100
	v_add_f16_e64 v140, v14, v140
	v_fma_f16 v154, v86, 0x2fb7, -v152
	v_mul_f16_e64 v155, 0xba95, v105
	v_add_f16_e64 v148, v68, v148
	v_fma_f16 v162, 0x3b15, v98, v160
	v_mul_f16_e64 v163, 0xb94e, v78
	v_add_f16_e64 v158, v68, v158
	v_fma_f16 v160, v98, 0x3b15, -v160
	v_add_f16_e64 v144, v68, v144
	v_fma_f16 v146, v98, 0x2fb7, -v146
	;; [unrolled: 2-line block ×3, first 2 shown]
	v_add_f16_e32 v117, v68, v117
	v_fma_f16 v119, v98, 0xbbc4, -v119
	v_add_f16_e32 v111, v14, v113
	v_fmac_f16_e32 v107, 0xb5ac, v86
	v_add_f16_e32 v108, v109, v108
	v_fmamk_f16 v109, v82, 0x3770, v100
	v_mul_f16_e32 v98, 0x388b, v98
	v_add_f16_e64 v140, v154, v140
	v_fma_f16 v154, v87, 0x388b, -v155
	v_mul_f16_e64 v157, 0x33a8, v96
	v_add_f16_e64 v148, v162, v148
	v_fma_f16 v162, 0xb9fd, v97, v163
	v_mul_f16_e64 v165, 0x3a95, v79
	v_add_f16_e64 v158, v160, v158
	v_fma_f16 v160, v97, 0xb9fd, -v163
	v_add_f16_e64 v144, v146, v144
	v_fma_f16 v146, v97, 0x388b, -v149
	;; [unrolled: 2-line block ×3, first 2 shown]
	v_add_f16_e32 v117, v119, v117
	v_fma_f16 v119, v97, 0xb5ac, -v121
	v_add_f16_e32 v107, v107, v111
	v_fma_f16 v111, v94, 0x3b15, -v115
	v_add_f16_e32 v109, v68, v109
	v_fmamk_f16 v112, v80, 0x3a95, v98
	v_mul_f16_e32 v97, 0x2fb7, v97
	v_add_f16_e64 v140, v154, v140
	v_fma_f16 v154, v88, 0xbbc4, -v157
	v_mul_f16_e64 v159, 0x3770, v99
	v_mul_f16_e64 v164, 0xb3a8, v101
	v_add_f16_e64 v148, v162, v148
	v_fma_f16 v162, 0x388b, v95, v165
	v_add_f16_e64 v158, v160, v158
	v_fma_f16 v160, v95, 0x388b, -v165
	v_add_f16_e64 v144, v146, v144
	v_fma_f16 v146, v95, 0xbbc4, -v151
	;; [unrolled: 2-line block ×3, first 2 shown]
	v_add_f16_e32 v117, v119, v117
	v_fma_f16 v119, v95, 0x3b15, -v123
	v_add_f16_e32 v108, v111, v108
	v_add_f16_e32 v109, v112, v109
	v_fmamk_f16 v111, v78, 0x3bf1, v97
	v_mul_f16_e32 v95, 0xb5ac, v95
	v_mul_f16_e32 v101, 0xb770, v101
	v_add_f16_e64 v140, v154, v140
	v_fma_f16 v154, v89, 0x3b15, -v159
	v_mul_f16_e64 v161, 0xbb7b, v103
	v_mul_f16_e64 v166, 0x3770, v102
	;; [unrolled: 1-line block ×3, first 2 shown]
	v_add_f16_e32 v109, v111, v109
	v_fmamk_f16 v111, v79, 0x3b7b, v95
	v_fmamk_f16 v112, v85, 0x3b15, v101
	v_mul_f16_e32 v102, 0xba95, v102
	v_add_f16_e32 v15, v15, v14
	v_add_f16_e32 v75, v75, v68
	v_add_f16_e64 v140, v154, v140
	v_fma_f16 v154, v90, 0xb5ac, -v161
	v_mul_f16_e64 v169, 0xb94e, v105
	v_add_f16_e64 v148, v162, v148
	v_fma_f16 v162, 0xb5ac, v93, v167
	v_add_f16_e64 v158, v160, v158
	v_fma_f16 v160, v93, 0xb5ac, -v167
	v_add_f16_e64 v144, v146, v144
	v_fma_f16 v146, v93, 0x3b15, -v153
	;; [unrolled: 2-line block ×3, first 2 shown]
	v_add_f16_e32 v117, v119, v117
	v_fma_f16 v119, v93, 0x388b, -v125
	v_mul_f16_e32 v93, 0xb9fd, v93
	v_add_f16_e32 v109, v111, v109
	v_add_f16_e32 v111, v14, v112
	v_fmamk_f16 v112, v86, 0x388b, v102
	v_mul_f16_e32 v105, 0xbbf1, v105
	v_add_f16_e32 v15, v24, v15
	v_add_f16_e32 v24, v77, v75
	v_add_f16_e64 v140, v154, v140
	v_fma_f16 v154, v85, 0xbbc4, -v164
	v_mul_f16_e64 v171, 0x3a95, v96
	v_fmamk_f16 v113, v81, 0x394e, v93
	v_add_f16_e32 v111, v112, v111
	v_fmamk_f16 v112, v87, 0x2fb7, v105
	v_mul_f16_e32 v96, 0xbb7b, v96
	v_add_f16_e32 v15, v25, v15
	v_add_f16_e32 v24, v73, v24
	v_add_f16_e64 v154, v14, v154
	v_fma_f16 v168, v86, 0x3b15, -v166
	v_add_f16_e32 v75, v113, v109
	v_add_f16_e32 v77, v112, v111
	v_fmamk_f16 v109, v88, 0xb5ac, v96
	v_mul_f16_e32 v25, 0xb94e, v99
	v_add_f16_e32 v15, v22, v15
	v_add_f16_e32 v22, v76, v24
	v_mul_f16_e64 v170, 0x3bf1, v83
	v_add_f16_e64 v154, v168, v154
	v_fma_f16 v168, v87, 0xb9fd, -v169
	v_add_f16_e32 v77, v109, v77
	v_fmamk_f16 v24, v89, 0xb9fd, v25
	v_mul_f16_e32 v76, 0xb3a8, v103
	v_add_f16_e32 v15, v23, v15
	v_add_f16_e32 v22, v72, v22
	v_add_f16_e64 v148, v162, v148
	v_fma_f16 v162, 0x2fb7, v94, v170
	v_add_f16_e64 v154, v168, v154
	v_fma_f16 v168, v88, 0x388b, -v171
	v_mul_f16_e64 v172, 0xbb7b, v99
	v_add_f16_e32 v23, v24, v77
	v_fmamk_f16 v24, v90, 0xbbc4, v76
	v_add_f16_e32 v15, v20, v15
	v_add_f16_e32 v20, v74, v22
	v_fmac_f16_e32 v122, 0x2fb7, v85
	v_fmac_f16_e64 v150, 0xb9fd, v85
	v_fmac_f16_e64 v136, 0xb5ac, v85
	v_add_f16_e64 v148, v162, v148
	v_add_f16_e64 v154, v168, v154
	v_fma_f16 v162, v89, 0xb5ac, -v172
	v_mul_f16_e64 v168, 0x3bf1, v103
	v_fmac_f16_e64 v164, 0xbbc4, v85
	v_fmac_f16_e32 v100, 0xb770, v82
	v_add_f16_e32 v22, v24, v23
	v_fma_f16 v23, v85, 0x3b15, -v101
	v_add_f16_e32 v15, v21, v15
	v_add_f16_e32 v20, v69, v20
	;; [unrolled: 1-line block ×3, first 2 shown]
	v_fmac_f16_e32 v124, 0xbbc4, v86
	v_add_f16_e64 v150, v14, v150
	v_fmac_f16_e64 v152, 0x2fb7, v86
	v_add_f16_e64 v136, v14, v136
	v_fmac_f16_e64 v138, 0xb9fd, v86
	v_add_f16_e64 v154, v162, v154
	v_fma_f16 v162, v90, 0x2fb7, -v168
	v_add_f16_e64 v163, v14, v164
	v_fmac_f16_e64 v166, 0x3b15, v86
	v_add_f16_e32 v21, v68, v100
	v_fmac_f16_e32 v98, 0xba95, v80
	v_add_f16_e32 v14, v14, v23
	v_fma_f16 v23, v86, 0x388b, -v102
	v_add_f16_e32 v15, v18, v15
	v_add_f16_e32 v18, v71, v20
	;; [unrolled: 1-line block ×3, first 2 shown]
	v_fmac_f16_e32 v127, 0xb5ac, v87
	v_fmac_f16_e32 v114, 0xbbc4, v87
	v_add_f16_e64 v150, v152, v150
	v_fmac_f16_e64 v155, 0x388b, v87
	v_add_f16_e64 v136, v138, v136
	v_fmac_f16_e64 v141, 0x3b15, v87
	v_add_f16_e64 v154, v162, v154
	v_add_f16_e64 v162, v166, v163
	v_fmac_f16_e64 v169, 0xb9fd, v87
	v_add_f16_e32 v20, v98, v21
	v_fmac_f16_e32 v97, 0xbbf1, v78
	v_add_f16_e32 v14, v23, v14
	v_fma_f16 v21, v87, 0x2fb7, -v105
	v_add_f16_e32 v15, v19, v15
	v_add_f16_e32 v18, v67, v18
	;; [unrolled: 1-line block ×3, first 2 shown]
	v_fmac_f16_e64 v129, 0x3b15, v88
	v_add_f16_e32 v107, v114, v107
	v_fmac_f16_e32 v116, 0xb9fd, v88
	v_add_f16_e64 v150, v155, v150
	v_fmac_f16_e64 v157, 0xbbc4, v88
	v_add_f16_e64 v136, v141, v136
	v_fmac_f16_e64 v143, 0x2fb7, v88
	;; [unrolled: 2-line block ×3, first 2 shown]
	v_mul_f16_e32 v73, 0xbbc4, v94
	v_add_f16_e32 v19, v97, v20
	v_fmac_f16_e32 v95, 0xbb7b, v79
	v_add_f16_e32 v14, v21, v14
	v_fma_f16 v20, v88, 0xb5ac, -v96
	v_add_f16_e32 v15, v16, v15
	v_add_f16_e32 v16, v70, v18
	v_add_f16_e64 v110, v129, v122
	v_fmac_f16_e64 v131, 0x388b, v89
	v_add_f16_e32 v107, v116, v107
	v_fmac_f16_e32 v118, 0x2fb7, v89
	v_add_f16_e64 v135, v157, v150
	v_fmac_f16_e64 v159, 0x3b15, v89
	v_add_f16_e64 v136, v143, v136
	v_fmac_f16_e64 v145, 0xbbc4, v89
	;; [unrolled: 2-line block ×3, first 2 shown]
	v_add_f16_e64 v158, v160, v158
	v_fma_f16 v160, v94, 0x2fb7, -v170
	v_add_f16_e64 v144, v146, v144
	v_fma_f16 v146, v94, 0xb5ac, -v156
	;; [unrolled: 2-line block ×3, first 2 shown]
	v_add_f16_e32 v117, v119, v117
	v_fma_f16 v119, v94, 0xb9fd, -v128
	v_fmamk_f16 v94, v83, 0x33a8, v73
	v_add_f16_e32 v18, v95, v19
	v_fmac_f16_e32 v93, 0xb94e, v81
	v_add_f16_e32 v14, v20, v14
	v_fma_f16 v19, v89, 0xb9fd, -v25
	v_add_f16_e32 v15, v17, v15
	v_add_f16_e32 v16, v66, v16
	v_add_f16_e64 v110, v131, v110
	v_fmac_f16_e64 v133, 0xb9fd, v90
	v_add_f16_e32 v107, v118, v107
	v_fmac_f16_e32 v120, 0x3b15, v90
	v_add_f16_e64 v135, v159, v135
	v_fmac_f16_e64 v161, 0xb5ac, v90
	v_add_f16_e64 v121, v145, v136
	v_fmac_f16_e64 v147, 0x388b, v90
	;; [unrolled: 2-line block ×3, first 2 shown]
	v_add_f16_e32 v72, v94, v75
	v_add_f16_e32 v17, v93, v18
	v_fmac_f16_e32 v73, 0xb3a8, v83
	v_add_f16_e32 v14, v19, v14
	v_fma_f16 v18, v90, 0xbbc4, -v76
	v_and_b32_e32 v19, 0xffff, v33
	v_add_f16_e32 v15, v34, v15
	v_add_f16_e32 v16, v35, v16
	;; [unrolled: 1-line block ×3, first 2 shown]
	v_add_f16_e64 v110, v133, v110
	v_add_f16_e32 v107, v120, v107
	v_add_f16_e64 v144, v146, v144
	v_add_f16_e64 v135, v161, v135
	;; [unrolled: 1-line block ×6, first 2 shown]
	v_add_f16_e32 v17, v73, v17
	v_add_f16_e32 v14, v18, v14
	v_lshlrev_b32_e32 v18, 2, v19
	v_pack_b32_f16 v19, v22, v72
	v_pack_b32_f16 v15, v15, v16
	;; [unrolled: 1-line block ×13, first 2 shown]
	ds_store_2addr_b32 v18, v15, v19 offset1:1
	ds_store_2addr_b32 v18, v20, v16 offset0:2 offset1:3
	ds_store_2addr_b32 v18, v22, v21 offset0:4 offset1:5
	;; [unrolled: 1-line block ×5, first 2 shown]
	ds_store_b32 v18, v14 offset:48
.LBB0_13:
	s_wait_alu 0xfffe
	s_or_b32 exec_lo, exec_lo, s0
	v_add_nc_u32_e32 v14, 0x400, v32
	v_add_nc_u32_e32 v15, 0x200, v32
	global_wb scope:SCOPE_SE
	s_wait_dscnt 0x0
	s_barrier_signal -1
	s_barrier_wait -1
	global_inv scope:SCOPE_SE
	ds_load_2addr_b32 v[19:20], v32 offset0:104 offset1:156
	v_add_nc_u32_e32 v16, 0x800, v32
	ds_load_2addr_b32 v[17:18], v32 offset1:52
	ds_load_2addr_b32 v[21:22], v14 offset0:56 offset1:108
	ds_load_2addr_b32 v[23:24], v14 offset0:160 offset1:212
	;; [unrolled: 1-line block ×4, first 2 shown]
	global_wb scope:SCOPE_SE
	s_wait_dscnt 0x0
	s_barrier_signal -1
	s_barrier_wait -1
	global_inv scope:SCOPE_SE
	v_lshrrev_b32_e32 v35, 16, v20
	v_mul_f16_e32 v70, v48, v20
	v_lshrrev_b32_e32 v71, 16, v21
	v_lshrrev_b32_e32 v72, 16, v24
	v_lshrrev_b32_e32 v74, 16, v22
	v_mul_f16_e32 v48, v48, v35
	v_fma_f16 v35, v10, v35, -v70
	v_mul_f16_e32 v70, v47, v21
	v_mul_f16_e32 v47, v47, v71
	;; [unrolled: 1-line block ×3, first 2 shown]
	v_lshrrev_b32_e32 v73, 16, v33
	v_mul_f16_e32 v46, v46, v24
	v_lshrrev_b32_e32 v76, 16, v34
	v_fmac_f16_e32 v47, v11, v21
	v_fmac_f16_e32 v79, v12, v24
	v_mul_f16_e32 v21, v44, v74
	v_mul_f16_e32 v24, v44, v22
	v_lshrrev_b32_e32 v75, 16, v66
	v_lshrrev_b32_e32 v77, 16, v23
	v_fmac_f16_e32 v48, v10, v20
	v_fma_f16 v10, v11, v71, -v70
	v_fma_f16 v11, v12, v72, -v46
	v_mul_f16_e32 v12, v45, v73
	v_mul_f16_e32 v20, v45, v33
	v_lshrrev_b32_e32 v78, 16, v67
	v_fmac_f16_e32 v21, v8, v22
	v_fma_f16 v8, v8, v74, -v24
	v_mul_f16_e32 v22, v42, v76
	v_mul_f16_e32 v24, v42, v34
	v_lshrrev_b32_e32 v25, 16, v17
	v_mul_f16_e32 v44, v43, v75
	v_fmac_f16_e32 v12, v7, v33
	v_fma_f16 v7, v7, v73, -v20
	v_mul_f16_e32 v20, v43, v66
	v_mul_f16_e32 v33, v41, v77
	;; [unrolled: 1-line block ×3, first 2 shown]
	v_fmac_f16_e32 v22, v4, v34
	v_fma_f16 v4, v4, v76, -v24
	v_mul_f16_e32 v24, v40, v78
	v_mul_f16_e32 v40, v40, v67
	v_fmac_f16_e32 v44, v9, v66
	v_fma_f16 v9, v9, v75, -v20
	v_fmac_f16_e32 v33, v5, v23
	v_sub_f16_e32 v20, v17, v47
	v_sub_f16_e32 v23, v48, v79
	;; [unrolled: 1-line block ×4, first 2 shown]
	v_lshrrev_b32_e32 v68, 16, v18
	v_lshrrev_b32_e32 v69, 16, v19
	v_fma_f16 v5, v5, v77, -v41
	v_fmac_f16_e32 v24, v6, v67
	v_fma_f16 v6, v6, v78, -v40
	v_fma_f16 v17, v17, 2.0, -v20
	v_fma_f16 v34, v48, 2.0, -v23
	;; [unrolled: 1-line block ×4, first 2 shown]
	v_sub_f16_e32 v21, v18, v21
	v_sub_f16_e32 v40, v12, v44
	;; [unrolled: 1-line block ×10, first 2 shown]
	v_add_f16_e32 v11, v20, v11
	v_sub_f16_e32 v23, v10, v23
	v_fma_f16 v18, v18, 2.0, -v21
	v_fma_f16 v12, v12, 2.0, -v40
	;; [unrolled: 1-line block ×12, first 2 shown]
	v_sub_f16_e32 v12, v18, v12
	v_sub_f16_e32 v7, v41, v7
	v_add_f16_e32 v9, v21, v9
	v_sub_f16_e32 v40, v8, v40
	v_sub_f16_e32 v22, v19, v22
	;; [unrolled: 1-line block ×3, first 2 shown]
	v_add_f16_e32 v6, v33, v6
	v_sub_f16_e32 v24, v5, v24
	v_pack_b32_f16 v17, v17, v25
	v_pack_b32_f16 v10, v20, v10
	v_fma_f16 v18, v18, 2.0, -v12
	v_fma_f16 v41, v41, 2.0, -v7
	;; [unrolled: 1-line block ×8, first 2 shown]
	ds_store_2addr_b32 v36, v17, v10 offset1:13
	v_pack_b32_f16 v10, v34, v35
	v_pack_b32_f16 v11, v11, v23
	;; [unrolled: 1-line block ×10, first 2 shown]
	ds_store_2addr_b32 v36, v10, v11 offset0:26 offset1:39
	ds_store_2addr_b32 v38, v17, v8 offset1:13
	ds_store_2addr_b32 v38, v7, v9 offset0:26 offset1:39
	ds_store_2addr_b32 v37, v12, v5 offset1:13
	ds_store_2addr_b32 v37, v4, v6 offset0:26 offset1:39
	global_wb scope:SCOPE_SE
	s_wait_dscnt 0x0
	s_barrier_signal -1
	s_barrier_wait -1
	global_inv scope:SCOPE_SE
	ds_load_2addr_b32 v[4:5], v32 offset1:52
	ds_load_2addr_b32 v[6:7], v32 offset0:104 offset1:156
	ds_load_2addr_b32 v[8:9], v15 offset0:80 offset1:132
	ds_load_2addr_b32 v[10:11], v14 offset0:56 offset1:108
	ds_load_2addr_b32 v[17:18], v14 offset0:160 offset1:212
	ds_load_2addr_b32 v[19:20], v16 offset0:8 offset1:60
	global_wb scope:SCOPE_SE
	s_wait_dscnt 0x0
	s_barrier_signal -1
	s_barrier_wait -1
	global_inv scope:SCOPE_SE
	v_lshrrev_b32_e32 v12, 16, v4
	v_lshrrev_b32_e32 v21, 16, v6
	;; [unrolled: 1-line block ×4, first 2 shown]
	v_mul_f16_e32 v40, v65, v6
	v_lshrrev_b32_e32 v24, 16, v17
	v_mul_f16_e32 v37, v65, v21
	v_mul_f16_e32 v42, v63, v22
	v_lshrrev_b32_e32 v25, 16, v19
	v_fma_f16 v21, v0, v21, -v40
	v_mul_f16_e32 v40, v61, v23
	v_fmac_f16_e32 v37, v0, v6
	v_mul_f16_e32 v6, v63, v8
	v_fmac_f16_e32 v42, v1, v8
	v_mul_f16_e32 v8, v61, v10
	v_lshrrev_b32_e32 v34, 16, v7
	v_fmac_f16_e32 v40, v2, v10
	v_fma_f16 v6, v1, v22, -v6
	v_mul_f16_e32 v22, v59, v24
	v_mul_f16_e32 v10, v59, v17
	v_fma_f16 v8, v2, v23, -v8
	v_mul_f16_e32 v23, v57, v25
	v_lshrrev_b32_e32 v35, 16, v9
	v_lshrrev_b32_e32 v36, 16, v11
	v_fmac_f16_e32 v22, v3, v17
	v_mul_f16_e32 v17, v57, v19
	v_fma_f16 v10, v3, v24, -v10
	v_mul_f16_e32 v24, v65, v34
	v_fmac_f16_e32 v23, v39, v19
	v_mul_f16_e32 v19, v65, v7
	v_lshrrev_b32_e32 v38, 16, v18
	v_fma_f16 v17, v39, v25, -v17
	v_mul_f16_e32 v25, v63, v35
	v_fmac_f16_e32 v24, v0, v7
	v_mul_f16_e32 v7, v63, v9
	v_fma_f16 v0, v0, v34, -v19
	v_mul_f16_e32 v19, v61, v36
	v_lshrrev_b32_e32 v41, 16, v20
	v_fmac_f16_e32 v25, v1, v9
	v_mul_f16_e32 v9, v61, v11
	v_fma_f16 v1, v1, v35, -v7
	v_mul_f16_e32 v7, v59, v38
	v_fmac_f16_e32 v19, v2, v11
	v_mul_f16_e32 v11, v59, v18
	v_fma_f16 v2, v2, v36, -v9
	v_mul_f16_e32 v9, v57, v41
	v_fmac_f16_e32 v7, v3, v18
	v_mul_f16_e32 v18, v57, v20
	v_fma_f16 v3, v3, v38, -v11
	v_add_f16_e32 v11, v42, v22
	v_fmac_f16_e32 v9, v39, v20
	v_add_f16_e32 v20, v4, v42
	v_add_f16_e32 v34, v6, v10
	;; [unrolled: 1-line block ×3, first 2 shown]
	v_fma_f16 v4, -0.5, v11, v4
	v_sub_f16_e32 v11, v6, v10
	v_add_f16_e32 v6, v12, v6
	v_fmac_f16_e32 v12, -0.5, v34
	v_add_f16_e32 v20, v20, v22
	v_sub_f16_e32 v22, v42, v22
	v_fmamk_f16 v34, v11, 0xbaee, v4
	v_fmac_f16_e32 v4, 0x3aee, v11
	v_add_f16_e32 v11, v8, v17
	v_add_f16_e32 v36, v21, v8
	;; [unrolled: 1-line block ×3, first 2 shown]
	v_fmamk_f16 v10, v22, 0x3aee, v12
	v_add_f16_e32 v38, v37, v40
	v_fmac_f16_e32 v21, -0.5, v11
	v_sub_f16_e32 v11, v40, v23
	v_fmac_f16_e32 v37, -0.5, v35
	v_sub_f16_e32 v8, v8, v17
	v_fmac_f16_e32 v12, 0xbaee, v22
	v_add_f16_e32 v17, v36, v17
	v_fmamk_f16 v22, v11, 0x3aee, v21
	v_fmac_f16_e32 v21, 0xbaee, v11
	v_add_f16_e32 v11, v38, v23
	v_fmamk_f16 v23, v8, 0xbaee, v37
	v_fmac_f16_e32 v37, 0x3aee, v8
	v_add_f16_e32 v38, v6, v17
	v_mul_f16_e32 v35, 0xbaee, v21
	v_mul_f16_e32 v21, -0.5, v21
	v_sub_f16_e32 v6, v6, v17
	v_add_f16_e32 v17, v25, v7
	v_lshrrev_b32_e32 v33, 16, v5
	v_fma_f16 v18, v39, v41, -v18
	v_fmac_f16_e32 v21, 0x3aee, v37
	v_mul_f16_e32 v8, 0xbaee, v22
	v_mul_f16_e32 v22, 0.5, v22
	v_add_f16_e32 v36, v20, v11
	v_sub_f16_e32 v11, v20, v11
	v_add_f16_e32 v40, v12, v21
	v_add_f16_e32 v20, v5, v25
	v_sub_f16_e32 v12, v12, v21
	v_add_f16_e32 v21, v1, v3
	v_fmac_f16_e32 v5, -0.5, v17
	v_sub_f16_e32 v17, v1, v3
	v_fmac_f16_e32 v22, 0x3aee, v23
	v_add_f16_e32 v1, v33, v1
	v_fmac_f16_e32 v33, -0.5, v21
	v_add_f16_e32 v20, v20, v7
	v_fmamk_f16 v21, v17, 0xbaee, v5
	v_fmac_f16_e32 v5, 0x3aee, v17
	v_add_f16_e32 v17, v2, v18
	v_add_f16_e32 v39, v10, v22
	v_sub_f16_e32 v10, v10, v22
	v_sub_f16_e32 v7, v25, v7
	v_add_f16_e32 v22, v19, v9
	v_add_f16_e32 v25, v0, v2
	v_fmac_f16_e32 v0, -0.5, v17
	v_sub_f16_e32 v17, v19, v9
	v_add_f16_e32 v1, v1, v3
	v_fmamk_f16 v3, v7, 0x3aee, v33
	v_add_f16_e32 v19, v24, v19
	v_fmac_f16_e32 v24, -0.5, v22
	v_sub_f16_e32 v2, v2, v18
	v_fmac_f16_e32 v33, 0xbaee, v7
	v_fmamk_f16 v7, v17, 0x3aee, v0
	v_fmac_f16_e32 v0, 0xbaee, v17
	v_fmac_f16_e32 v8, 0.5, v23
	v_fmamk_f16 v17, v2, 0xbaee, v24
	v_fmac_f16_e32 v24, 0x3aee, v2
	v_mul_f16_e32 v2, 0xbaee, v7
	v_mul_f16_e32 v7, 0.5, v7
	v_add_f16_e32 v9, v19, v9
	v_mul_f16_e32 v19, 0xbaee, v0
	v_mul_f16_e32 v0, -0.5, v0
	v_fmac_f16_e32 v35, -0.5, v37
	v_add_f16_e32 v23, v34, v8
	v_add_f16_e32 v18, v25, v18
	v_fmac_f16_e32 v7, 0x3aee, v17
	v_fmac_f16_e32 v2, 0.5, v17
	v_fmac_f16_e32 v19, -0.5, v24
	v_fmac_f16_e32 v0, 0x3aee, v24
	v_add_f16_e32 v37, v4, v35
	v_sub_f16_e32 v8, v34, v8
	v_add_f16_e32 v25, v1, v18
	v_add_f16_e32 v34, v3, v7
	v_sub_f16_e32 v1, v1, v18
	v_sub_f16_e32 v3, v3, v7
	v_pack_b32_f16 v7, v36, v38
	v_pack_b32_f16 v18, v23, v39
	v_sub_f16_e32 v4, v4, v35
	v_add_f16_e32 v22, v20, v9
	v_add_f16_e32 v17, v21, v2
	;; [unrolled: 1-line block ×4, first 2 shown]
	v_sub_f16_e32 v9, v20, v9
	v_sub_f16_e32 v2, v21, v2
	v_sub_f16_e32 v5, v5, v19
	v_sub_f16_e32 v0, v33, v0
	ds_store_2addr_b32 v32, v7, v18 offset1:52
	v_pack_b32_f16 v7, v37, v40
	v_pack_b32_f16 v6, v11, v6
	;; [unrolled: 1-line block ×10, first 2 shown]
	ds_store_2addr_b32 v32, v7, v6 offset0:104 offset1:156
	ds_store_2addr_b32 v15, v8, v4 offset0:80 offset1:132
	;; [unrolled: 1-line block ×5, first 2 shown]
	global_wb scope:SCOPE_SE
	s_wait_dscnt 0x0
	s_barrier_signal -1
	s_barrier_wait -1
	global_inv scope:SCOPE_SE
	ds_load_2addr_b32 v[0:1], v32 offset1:52
	ds_load_2addr_b32 v[2:3], v14 offset0:56 offset1:108
	ds_load_2addr_b32 v[4:5], v32 offset0:104 offset1:156
	;; [unrolled: 1-line block ×5, first 2 shown]
	s_wait_dscnt 0x5
	v_lshrrev_b32_e32 v12, 16, v0
	s_wait_dscnt 0x4
	v_lshrrev_b32_e32 v17, 16, v2
	v_lshrrev_b32_e32 v19, 16, v3
	s_wait_dscnt 0x2
	v_lshrrev_b32_e32 v21, 16, v6
	v_mul_f16_e32 v36, v64, v2
	v_lshrrev_b32_e32 v23, 16, v7
	v_mul_f16_e32 v25, v64, v17
	v_mul_f16_e32 v37, v62, v3
	;; [unrolled: 1-line block ×3, first 2 shown]
	v_fma_f16 v17, v49, v17, -v36
	v_mul_f16_e32 v36, v60, v6
	v_fmac_f16_e32 v25, v49, v2
	v_mul_f16_e32 v2, v62, v19
	s_wait_dscnt 0x0
	v_lshrrev_b32_e32 v35, 16, v11
	v_fmac_f16_e32 v38, v53, v6
	v_mul_f16_e32 v6, v58, v23
	v_lshrrev_b32_e32 v33, 16, v10
	v_fmac_f16_e32 v2, v52, v3
	v_fma_f16 v3, v52, v19, -v37
	v_fma_f16 v19, v53, v21, -v36
	v_mul_f16_e32 v21, v58, v7
	v_lshrrev_b32_e32 v18, 16, v1
	v_fmac_f16_e32 v6, v50, v7
	v_mul_f16_e32 v7, v55, v35
	v_mul_f16_e32 v36, v56, v33
	;; [unrolled: 1-line block ×3, first 2 shown]
	v_fma_f16 v21, v50, v23, -v21
	v_mul_f16_e32 v23, v55, v11
	v_fmac_f16_e32 v7, v51, v11
	v_sub_f16_e32 v11, v0, v25
	v_sub_f16_e32 v17, v12, v17
	;; [unrolled: 1-line block ×4, first 2 shown]
	v_lshrrev_b32_e32 v20, 16, v4
	v_lshrrev_b32_e32 v22, 16, v5
	;; [unrolled: 1-line block ×4, first 2 shown]
	v_fmac_f16_e32 v36, v54, v10
	v_fma_f16 v10, v54, v33, -v37
	v_fma_f16 v23, v51, v35, -v23
	v_fma_f16 v0, v0, 2.0, -v11
	v_fma_f16 v12, v12, 2.0, -v17
	;; [unrolled: 1-line block ×4, first 2 shown]
	v_sub_f16_e32 v25, v4, v38
	v_sub_f16_e32 v19, v20, v19
	;; [unrolled: 1-line block ×8, first 2 shown]
	v_pack_b32_f16 v0, v0, v12
	v_pack_b32_f16 v1, v1, v18
	v_fma_f16 v4, v4, 2.0, -v25
	v_fma_f16 v20, v20, 2.0, -v19
	;; [unrolled: 1-line block ×8, first 2 shown]
	v_pack_b32_f16 v11, v11, v17
	ds_store_2addr_b32 v32, v0, v1 offset1:52
	v_pack_b32_f16 v0, v2, v3
	v_pack_b32_f16 v1, v4, v20
	;; [unrolled: 1-line block ×9, first 2 shown]
	ds_store_2addr_b32 v14, v11, v0 offset0:56 offset1:108
	ds_store_2addr_b32 v32, v1, v3 offset0:104 offset1:156
	;; [unrolled: 1-line block ×5, first 2 shown]
	global_wb scope:SCOPE_SE
	s_wait_dscnt 0x0
	s_barrier_signal -1
	s_barrier_wait -1
	global_inv scope:SCOPE_SE
	s_and_b32 exec_lo, exec_lo, vcc_lo
	s_cbranch_execz .LBB0_15
; %bb.14:
	v_add_nc_u32_e32 v10, 0x200, v31
	s_clause 0x6
	global_load_b32 v2, v28, s[24:25]
	global_load_b32 v3, v28, s[24:25] offset:192
	global_load_b32 v4, v28, s[24:25] offset:384
	;; [unrolled: 1-line block ×6, first 2 shown]
	ds_load_b32 v34, v32
	ds_load_2addr_b32 v[18:19], v31 offset0:48 offset1:96
	ds_load_2addr_b32 v[20:21], v31 offset0:144 offset1:192
	global_load_b32 v14, v28, s[24:25] offset:1344
	ds_load_2addr_b32 v[22:23], v10 offset0:112 offset1:160
	s_clause 0x2
	global_load_b32 v12, v28, s[24:25] offset:1536
	global_load_b32 v11, v28, s[24:25] offset:1728
	;; [unrolled: 1-line block ×3, first 2 shown]
	v_mad_co_u64_u32 v[8:9], null, s22, v13, 0
	v_mad_co_u64_u32 v[16:17], null, s20, v29, 0
	v_mad_co_u64_u32 v[0:1], null, s20, v30, 0
	s_mov_b32 s28, 0x1a41a41a
	s_mov_b32 s29, 0x3f5a41a4
	s_mul_u64 s[26:27], s[20:21], 0xc0
	s_wait_dscnt 0x2
	s_delay_alu instid0(VALU_DEP_2)
	v_mad_co_u64_u32 v[32:33], null, s21, v29, v[17:18]
	s_wait_dscnt 0x1
	v_lshrrev_b32_e32 v35, 16, v20
	v_lshrrev_b32_e32 v36, 16, v21
	s_wait_dscnt 0x0
	v_lshrrev_b32_e32 v37, 16, v22
	s_delay_alu instid0(VALU_DEP_4)
	v_mov_b32_e32 v17, v32
	s_wait_loadcnt 0xa
	v_mad_co_u64_u32 v[29:30], null, s21, v30, v[1:2]
	v_lshrrev_b32_e32 v1, 16, v34
	v_lshrrev_b32_e32 v30, 16, v19
	s_wait_loadcnt 0x8
	v_lshrrev_b32_e32 v32, 16, v4
	s_wait_loadcnt 0x7
	;; [unrolled: 2-line block ×4, first 2 shown]
	v_lshrrev_b32_e32 v40, 16, v7
	s_delay_alu instid0(VALU_DEP_2)
	v_mul_f16_e32 v42, v36, v39
	s_wait_loadcnt 0x0
	v_mad_co_u64_u32 v[24:25], null, s23, v13, v[9:10]
	v_lshrrev_b32_e32 v13, 16, v18
	v_lshrrev_b32_e32 v25, 16, v3
	v_fmac_f16_e32 v42, v21, v6
	s_delay_alu instid0(VALU_DEP_2) | instskip(SKIP_2) | instid1(VALU_DEP_3)
	v_mul_f16_e32 v41, v13, v25
	v_mov_b32_e32 v9, v24
	v_lshrrev_b32_e32 v24, 16, v2
	v_fmac_f16_e32 v41, v18, v3
	s_delay_alu instid0(VALU_DEP_3) | instskip(NEXT) | instid1(VALU_DEP_3)
	v_lshlrev_b64_e32 v[8:9], 2, v[8:9]
	v_mul_f16_e32 v38, v1, v24
	v_mul_f16_e32 v24, v34, v24
	s_delay_alu instid0(VALU_DEP_2) | instskip(NEXT) | instid1(VALU_DEP_2)
	v_fmac_f16_e32 v38, v34, v2
	v_fma_f16 v1, v2, v1, -v24
	v_mul_f16_e32 v2, v18, v25
	v_mul_f16_e32 v34, v30, v32
	;; [unrolled: 1-line block ×3, first 2 shown]
	v_cvt_f32_f16_e32 v24, v38
	v_cvt_f32_f16_e32 v25, v1
	v_fma_f16 v3, v3, v13, -v2
	v_cvt_f32_f16_e32 v13, v41
	v_fmac_f16_e32 v34, v19, v4
	v_cvt_f64_f32_e32 v[1:2], v24
	v_cvt_f64_f32_e32 v[24:25], v25
	v_cvt_f32_f16_e32 v3, v3
	v_cvt_f64_f32_e32 v[18:19], v13
	v_mul_f16_e32 v38, v35, v33
	v_mul_f16_e32 v41, v20, v33
	v_cvt_f32_f16_e32 v33, v34
	v_fma_f16 v30, v4, v30, -v32
	v_cvt_f64_f32_e32 v[3:4], v3
	v_fmac_f16_e32 v38, v20, v5
	v_mul_f16_e32 v13, v21, v39
	v_cvt_f64_f32_e32 v[32:33], v33
	v_cvt_f32_f16_e32 v20, v30
	v_fma_f16 v5, v5, v35, -v41
	v_cvt_f32_f16_e32 v30, v38
	v_mul_f16_e32 v39, v37, v40
	v_mul_f16_e32 v38, v22, v40
	v_cvt_f64_f32_e32 v[20:21], v20
	v_cvt_f32_f16_e32 v5, v5
	v_cvt_f64_f32_e32 v[34:35], v30
	v_fma_f16 v13, v6, v36, -v13
	v_fmac_f16_e32 v39, v22, v7
	v_cvt_f32_f16_e32 v22, v42
	v_cvt_f64_f32_e32 v[5:6], v5
	v_fma_f16 v7, v7, v37, -v38
	v_cvt_f32_f16_e32 v13, v13
	v_cvt_f32_f16_e32 v40, v39
	v_cvt_f64_f32_e32 v[36:37], v22
	v_add_co_u32 v8, vcc_lo, s4, v8
	s_delay_alu instid0(VALU_DEP_4) | instskip(NEXT) | instid1(VALU_DEP_4)
	v_cvt_f64_f32_e32 v[38:39], v13
	v_cvt_f64_f32_e32 v[40:41], v40
	v_add_co_ci_u32_e32 v9, vcc_lo, s5, v9, vcc_lo
	v_lshrrev_b32_e32 v30, 16, v23
	v_cvt_f32_f16_e32 v7, v7
	v_mul_f64_e32 v[44:45], s[28:29], v[1:2]
	v_mul_f64_e32 v[24:25], s[28:29], v[24:25]
	v_lshrrev_b32_e32 v1, 16, v15
	v_mul_f64_e32 v[18:19], s[28:29], v[18:19]
	v_cvt_f64_f32_e32 v[42:43], v7
	s_delay_alu instid0(VALU_DEP_3) | instskip(SKIP_3) | instid1(VALU_DEP_4)
	v_mul_f16_e32 v2, v30, v1
	v_mul_f64_e32 v[46:47], s[28:29], v[3:4]
	v_mul_f16_e32 v1, v23, v1
	v_mul_f64_e32 v[32:33], s[28:29], v[32:33]
	v_fmac_f16_e32 v2, v23, v15
	s_delay_alu instid0(VALU_DEP_3) | instskip(SKIP_1) | instid1(VALU_DEP_3)
	v_fma_f16 v1, v15, v30, -v1
	v_mul_f64_e32 v[20:21], s[28:29], v[20:21]
	v_cvt_f32_f16_e32 v4, v2
	v_mul_f64_e32 v[34:35], s[28:29], v[34:35]
	s_delay_alu instid0(VALU_DEP_4) | instskip(SKIP_1) | instid1(VALU_DEP_4)
	v_cvt_f32_f16_e32 v1, v1
	v_mul_f64_e32 v[52:53], s[28:29], v[5:6]
	v_cvt_f64_f32_e32 v[22:23], v4
	v_mul_f64_e32 v[36:37], s[28:29], v[36:37]
	v_mul_f64_e32 v[38:39], s[28:29], v[38:39]
	;; [unrolled: 1-line block ×3, first 2 shown]
	v_and_or_b32 v13, 0x1ff, v45, v44
	v_bfe_u32 v44, v25, 20, 11
	v_and_or_b32 v24, 0x1ff, v25, v24
	v_and_or_b32 v18, 0x1ff, v19, v18
	v_lshrrev_b32_e32 v40, 8, v45
	v_mul_f64_e32 v[4:5], s[28:29], v[42:43]
	v_sub_nc_u32_e32 v72, 0x3f1, v44
	v_add_nc_u32_e32 v44, 0xfffffc10, v44
	v_lshlrev_b64_e32 v[16:17], 2, v[16:17]
	v_and_or_b32 v46, 0x1ff, v47, v46
	v_bfe_u32 v41, v45, 20, 11
	v_and_or_b32 v32, 0x1ff, v33, v32
	v_lshrrev_b32_e32 v43, 8, v25
	v_bfe_u32 v56, v47, 20, 11
	v_add_co_u32 v16, vcc_lo, v8, v16
	s_wait_alu 0xfffd
	v_add_co_ci_u32_e32 v17, vcc_lo, v9, v17, vcc_lo
	v_and_or_b32 v20, 0x1ff, v21, v20
	s_delay_alu instid0(VALU_DEP_3) | instskip(SKIP_1) | instid1(VALU_DEP_3)
	v_add_co_u32 v48, vcc_lo, v16, s26
	s_wait_alu 0xfffd
	v_add_co_ci_u32_e32 v49, vcc_lo, s27, v17, vcc_lo
	v_and_or_b32 v34, 0x1ff, v35, v34
	s_delay_alu instid0(VALU_DEP_3) | instskip(SKIP_1) | instid1(VALU_DEP_3)
	;; [unrolled: 5-line block ×3, first 2 shown]
	v_add_co_u32 v2, vcc_lo, v50, s26
	s_wait_alu 0xfffd
	v_add_co_ci_u32_e32 v3, vcc_lo, s27, v51, vcc_lo
	v_cmp_ne_u32_e32 vcc_lo, 0, v13
	v_and_or_b32 v36, 0x1ff, v37, v36
	v_and_or_b32 v38, 0x1ff, v39, v38
	;; [unrolled: 1-line block ×3, first 2 shown]
	v_lshrrev_b32_e32 v42, 16, v45
	s_wait_alu 0xfffd
	v_cndmask_b32_e64 v13, 0, 1, vcc_lo
	v_cmp_ne_u32_e32 vcc_lo, 0, v24
	v_lshrrev_b32_e32 v45, 8, v19
	v_bfe_u32 v54, v19, 20, 11
	v_lshrrev_b32_e32 v55, 8, v47
	v_and_or_b32 v13, 0xffe, v40, v13
	s_wait_alu 0xfffd
	v_cndmask_b32_e64 v24, 0, 1, vcc_lo
	v_cmp_ne_u32_e32 vcc_lo, 0, v18
	v_bfe_u32 v60, v21, 20, 11
	v_sub_nc_u32_e32 v71, 0x3f1, v41
	v_add_nc_u32_e32 v41, 0xfffffc10, v41
	v_sub_nc_u32_e32 v74, 0x3f1, v56
	s_wait_alu 0xfffd
	v_cndmask_b32_e64 v18, 0, 1, vcc_lo
	v_cmp_ne_u32_e32 vcc_lo, 0, v46
	v_and_or_b32 v24, 0xffe, v43, v24
	v_bfe_u32 v58, v33, 20, 11
	v_lshrrev_b32_e32 v59, 8, v21
	v_bfe_u32 v64, v53, 20, 11
	s_wait_alu 0xfffd
	v_cndmask_b32_e64 v46, 0, 1, vcc_lo
	v_cmp_ne_u32_e32 vcc_lo, 0, v32
	v_sub_nc_u32_e32 v73, 0x3f1, v54
	v_sub_nc_u32_e32 v76, 0x3f1, v60
	v_med3_i32 v40, v71, 0, 13
	v_med3_i32 v43, v72, 0, 13
	s_wait_alu 0xfffd
	v_cndmask_b32_e64 v32, 0, 1, vcc_lo
	v_cmp_ne_u32_e32 vcc_lo, 0, v20
	v_and_or_b32 v18, 0xffe, v45, v18
	v_and_or_b32 v46, 0xffe, v55, v46
	v_med3_i32 v55, v74, 0, 13
	v_or_b32_e32 v71, 0x1000, v13
	s_wait_alu 0xfffd
	v_cndmask_b32_e64 v20, 0, 1, vcc_lo
	v_cmp_ne_u32_e32 vcc_lo, 0, v34
	v_lshl_or_b32 v72, v41, 12, v13
	v_lshl_or_b32 v74, v44, 12, v24
	v_add_nc_u32_e32 v54, 0xfffffc10, v54
	v_lshrrev_b32_e32 v57, 8, v33
	s_wait_alu 0xfffd
	v_cndmask_b32_e64 v34, 0, 1, vcc_lo
	v_cmp_ne_u32_e32 vcc_lo, 0, v52
	v_bfe_u32 v62, v35, 20, 11
	v_lshrrev_b32_e32 v63, 8, v53
	v_bfe_u32 v68, v39, 20, 11
	v_sub_nc_u32_e32 v75, 0x3f1, v58
	s_wait_alu 0xfffd
	v_cndmask_b32_e64 v52, 0, 1, vcc_lo
	v_cmp_ne_u32_e32 vcc_lo, 0, v36
	v_sub_nc_u32_e32 v78, 0x3f1, v64
	v_med3_i32 v45, v73, 0, 13
	v_and_or_b32 v20, 0xffe, v59, v20
	v_med3_i32 v59, v76, 0, 13
	s_wait_alu 0xfffd
	v_cndmask_b32_e64 v36, 0, 1, vcc_lo
	v_cmp_ne_u32_e32 vcc_lo, 0, v38
	v_or_b32_e32 v73, 0x1000, v24
	v_lshl_or_b32 v76, v54, 12, v18
	v_add_nc_u32_e32 v56, 0xfffffc10, v56
	v_lshrrev_b32_e32 v61, 8, v35
	s_wait_alu 0xfffd
	v_cndmask_b32_e64 v38, 0, 1, vcc_lo
	v_cmp_ne_u32_e32 vcc_lo, 0, v6
	v_bfe_u32 v66, v37, 20, 11
	v_lshrrev_b32_e32 v67, 8, v39
	v_sub_nc_u32_e32 v77, 0x3f1, v62
	v_sub_nc_u32_e32 v80, 0x3f1, v68
	s_wait_alu 0xfffd
	v_cndmask_b32_e64 v6, 0, 1, vcc_lo
	v_cmp_ne_u32_e32 vcc_lo, 0, v13
	v_and_or_b32 v32, 0xffe, v57, v32
	v_med3_i32 v57, v75, 0, 13
	v_and_or_b32 v52, 0xffe, v63, v52
	v_med3_i32 v63, v78, 0, 13
	s_wait_alu 0xfffd
	v_cndmask_b32_e64 v13, 0, 1, vcc_lo
	v_cmp_ne_u32_e32 vcc_lo, 0, v24
	v_or_b32_e32 v75, 0x1000, v18
	v_lshl_or_b32 v78, v56, 12, v46
	v_add_nc_u32_e32 v58, 0xfffffc10, v58
	v_lshrrev_b32_e32 v65, 8, v37
	s_wait_alu 0xfffd
	v_cndmask_b32_e64 v24, 0, 1, vcc_lo
	v_cmp_ne_u32_e32 vcc_lo, 0, v18
	v_bfe_u32 v70, v7, 20, 11
	v_sub_nc_u32_e32 v79, 0x3f1, v66
	v_and_or_b32 v34, 0xffe, v61, v34
	v_med3_i32 v61, v77, 0, 13
	s_wait_alu 0xfffd
	v_cndmask_b32_e64 v18, 0, 1, vcc_lo
	v_cmp_ne_u32_e32 vcc_lo, 0, v46
	v_and_or_b32 v38, 0xffe, v67, v38
	v_med3_i32 v67, v80, 0, 13
	v_or_b32_e32 v77, 0x1000, v46
	v_lshl_or_b32 v80, v58, 12, v32
	v_add_nc_u32_e32 v60, 0xfffffc10, v60
	s_wait_alu 0xfffd
	v_cndmask_b32_e64 v46, 0, 1, vcc_lo
	v_cmp_ne_u32_e32 vcc_lo, 0, v32
	v_lshrrev_b32_e32 v69, 8, v7
	v_sub_nc_u32_e32 v81, 0x3f1, v70
	v_and_or_b32 v36, 0xffe, v65, v36
	v_med3_i32 v65, v79, 0, 13
	v_or_b32_e32 v79, 0x1000, v32
	s_wait_alu 0xfffd
	v_cndmask_b32_e64 v32, 0, 1, vcc_lo
	v_lshl_or_b32 v82, v60, 12, v20
	v_add_nc_u32_e32 v62, 0xfffffc10, v62
	v_cmp_ne_u32_e32 vcc_lo, 0, v20
	v_and_or_b32 v6, 0xffe, v69, v6
	v_med3_i32 v69, v81, 0, 13
	v_or_b32_e32 v81, 0x1000, v20
	v_lshl_or_b32 v84, v62, 12, v34
	v_add_nc_u32_e32 v64, 0xfffffc10, v64
	s_wait_alu 0xfffd
	v_cndmask_b32_e64 v20, 0, 1, vcc_lo
	v_cmp_ne_u32_e32 vcc_lo, 0, v34
	v_or_b32_e32 v83, 0x1000, v34
	v_or_b32_e32 v85, 0x1000, v52
	v_lshl_or_b32 v86, v64, 12, v52
	v_add_nc_u32_e32 v66, 0xfffffc10, v66
	s_wait_alu 0xfffd
	v_cndmask_b32_e64 v34, 0, 1, vcc_lo
	v_cmp_ne_u32_e32 vcc_lo, 0, v52
	v_lshrrev_b32_e32 v92, v40, v71
	v_or_b32_e32 v87, 0x1000, v36
	v_lshl_or_b32 v88, v66, 12, v36
	v_add_nc_u32_e32 v68, 0xfffffc10, v68
	s_wait_alu 0xfffd
	v_cndmask_b32_e64 v52, 0, 1, vcc_lo
	v_cmp_ne_u32_e32 vcc_lo, 0, v36
	v_lshrrev_b32_e32 v93, v43, v73
	v_or_b32_e32 v89, 0x1000, v38
	v_lshl_or_b32 v90, v68, 12, v38
	v_lshlrev_b32_e32 v40, v40, v92
	s_wait_alu 0xfffd
	v_cndmask_b32_e64 v36, 0, 1, vcc_lo
	v_cmp_ne_u32_e32 vcc_lo, 0, v38
	v_lshrrev_b32_e32 v94, v45, v75
	v_lshlrev_b32_e32 v43, v43, v93
	v_lshl_or_b32 v24, v24, 9, 0x7c00
	v_lshrrev_b32_e32 v95, v55, v77
	s_wait_alu 0xfffd
	v_cndmask_b32_e64 v38, 0, 1, vcc_lo
	v_cmp_ne_u32_e32 vcc_lo, v40, v71
	v_lshlrev_b32_e32 v45, v45, v94
	v_lshl_or_b32 v18, v18, 9, 0x7c00
	v_lshrrev_b32_e32 v96, v57, v79
	v_lshlrev_b32_e32 v55, v55, v95
	s_wait_alu 0xfffd
	v_cndmask_b32_e64 v40, 0, 1, vcc_lo
	v_cmp_ne_u32_e32 vcc_lo, v43, v73
	v_lshl_or_b32 v46, v46, 9, 0x7c00
	v_lshrrev_b32_e32 v97, v59, v81
	v_lshlrev_b32_e32 v57, v57, v96
	v_lshl_or_b32 v32, v32, 9, 0x7c00
	s_wait_alu 0xfffd
	v_cndmask_b32_e64 v43, 0, 1, vcc_lo
	v_cmp_ne_u32_e32 vcc_lo, v45, v75
	v_lshrrev_b32_e32 v98, v61, v83
	v_lshlrev_b32_e32 v59, v59, v97
	v_lshl_or_b32 v20, v20, 9, 0x7c00
	v_lshrrev_b32_e32 v99, v63, v85
	s_wait_alu 0xfffd
	v_cndmask_b32_e64 v45, 0, 1, vcc_lo
	v_cmp_ne_u32_e32 vcc_lo, v55, v77
	v_lshlrev_b32_e32 v61, v61, v98
	v_lshl_or_b32 v34, v34, 9, 0x7c00
	v_lshrrev_b32_e32 v100, v65, v87
	v_lshlrev_b32_e32 v63, v63, v99
	s_wait_alu 0xfffd
	v_cndmask_b32_e64 v55, 0, 1, vcc_lo
	v_cmp_ne_u32_e32 vcc_lo, v57, v79
	v_lshrrev_b32_e32 v101, v67, v89
	v_lshl_or_b32 v38, v38, 9, 0x7c00
	v_lshlrev_b32_e32 v65, v65, v100
	v_lshl_or_b32 v36, v36, 9, 0x7c00
	s_wait_alu 0xfffd
	v_cndmask_b32_e64 v57, 0, 1, vcc_lo
	v_cmp_ne_u32_e32 vcc_lo, v59, v81
	v_lshlrev_b32_e32 v67, v67, v101
	v_or_b32_e32 v40, v92, v40
	v_or_b32_e32 v43, v93, v43
	;; [unrolled: 1-line block ×3, first 2 shown]
	s_wait_alu 0xfffd
	v_cndmask_b32_e64 v59, 0, 1, vcc_lo
	v_cmp_ne_u32_e32 vcc_lo, v61, v83
	v_or_b32_e32 v55, v95, v55
	v_or_b32_e32 v57, v96, v57
	v_lshl_or_b32 v13, v13, 9, 0x7c00
	v_or_b32_e32 v59, v97, v59
	s_wait_alu 0xfffd
	v_cndmask_b32_e64 v61, 0, 1, vcc_lo
	v_cmp_ne_u32_e32 vcc_lo, v63, v85
	v_lshrrev_b32_e32 v19, 16, v19
	v_or_b32_e32 v91, 0x1000, v6
	v_lshl_or_b32 v52, v52, 9, 0x7c00
	v_or_b32_e32 v61, v98, v61
	s_wait_alu 0xfffd
	v_cndmask_b32_e64 v63, 0, 1, vcc_lo
	v_cmp_ne_u32_e32 vcc_lo, v65, v87
	v_lshrrev_b32_e32 v25, 16, v25
	v_lshrrev_b32_e32 v33, 16, v33
	;; [unrolled: 1-line block ×3, first 2 shown]
	v_or_b32_e32 v63, v99, v63
	s_wait_alu 0xfffd
	v_cndmask_b32_e64 v65, 0, 1, vcc_lo
	v_cmp_ne_u32_e32 vcc_lo, v67, v89
	v_lshrrev_b32_e32 v35, 16, v35
	v_lshrrev_b32_e32 v102, v69, v91
	;; [unrolled: 1-line block ×3, first 2 shown]
	v_or_b32_e32 v65, v100, v65
	s_wait_alu 0xfffd
	v_cndmask_b32_e64 v67, 0, 1, vcc_lo
	v_cmp_gt_i32_e32 vcc_lo, 1, v41
	v_lshrrev_b32_e32 v53, 16, v53
	v_lshlrev_b32_e32 v69, v69, v102
	v_and_or_b32 v4, 0x1ff, v5, v4
	v_or_b32_e32 v67, v101, v67
	s_wait_alu 0xfffd
	v_cndmask_b32_e32 v40, v72, v40, vcc_lo
	v_cmp_gt_i32_e32 vcc_lo, 1, v44
	v_lshrrev_b32_e32 v37, 16, v37
	v_lshrrev_b32_e32 v39, 16, v39
	s_delay_alu instid0(VALU_DEP_4)
	v_and_b32_e32 v71, 7, v40
	s_wait_alu 0xfffd
	v_cndmask_b32_e32 v43, v74, v43, vcc_lo
	v_cmp_gt_i32_e32 vcc_lo, 1, v54
	v_lshrrev_b32_e32 v40, 2, v40
	v_cmp_eq_u32_e64 s0, 3, v71
	s_wait_alu 0xfffd
	v_dual_cndmask_b32 v45, v76, v45 :: v_dual_and_b32 v72, 7, v43
	v_cmp_gt_i32_e32 vcc_lo, 1, v56
	v_lshrrev_b32_e32 v43, 2, v43
	s_delay_alu instid0(VALU_DEP_3) | instskip(NEXT) | instid1(VALU_DEP_4)
	v_cmp_lt_i32_e64 s1, 5, v72
	v_and_b32_e32 v73, 7, v45
	s_wait_alu 0xfffd
	v_cndmask_b32_e32 v55, v78, v55, vcc_lo
	v_cmp_gt_i32_e32 vcc_lo, 1, v58
	v_cmp_eq_u32_e64 s2, 3, v72
	v_lshrrev_b32_e32 v45, 2, v45
	v_cmp_lt_i32_e64 s3, 5, v73
	s_wait_alu 0xfffd
	v_dual_cndmask_b32 v57, v80, v57 :: v_dual_and_b32 v74, 7, v55
	v_cmp_gt_i32_e32 vcc_lo, 1, v60
	v_cmp_eq_u32_e64 s4, 3, v73
	v_lshrrev_b32_e32 v55, 2, v55
	s_delay_alu instid0(VALU_DEP_4)
	v_cmp_lt_i32_e64 s5, 5, v74
	v_and_b32_e32 v75, 7, v57
	s_wait_alu 0xfffd
	v_cndmask_b32_e32 v59, v82, v59, vcc_lo
	v_cmp_gt_i32_e32 vcc_lo, 1, v62
	v_cmp_eq_u32_e64 s6, 3, v74
	v_lshrrev_b32_e32 v57, 2, v57
	v_cmp_lt_i32_e64 s7, 5, v75
	s_wait_alu 0xfffd
	v_dual_cndmask_b32 v61, v84, v61 :: v_dual_and_b32 v76, 7, v59
	v_cmp_gt_i32_e32 vcc_lo, 1, v64
	v_cmp_eq_u32_e64 s8, 3, v75
	v_lshrrev_b32_e32 v59, 2, v59
	s_delay_alu instid0(VALU_DEP_4)
	;; [unrolled: 14-line block ×3, first 2 shown]
	v_cmp_lt_i32_e64 s13, 5, v78
	v_and_b32_e32 v79, 7, v65
	s_wait_alu 0xfffd
	v_cndmask_b32_e32 v67, v90, v67, vcc_lo
	v_cmp_lt_i32_e32 vcc_lo, 5, v71
	v_cmp_eq_u32_e64 s14, 3, v78
	v_lshrrev_b32_e32 v65, 2, v65
	v_cmp_lt_i32_e64 s15, 5, v79
	v_and_b32_e32 v80, 7, v67
	s_or_b32 vcc_lo, s0, vcc_lo
	v_cmp_eq_u32_e64 s16, 3, v79
	s_wait_alu 0xfffe
	v_add_co_ci_u32_e32 v40, vcc_lo, 0, v40, vcc_lo
	s_or_b32 vcc_lo, s2, s1
	v_cmp_lt_i32_e64 s17, 5, v80
	s_wait_alu 0xfffe
	v_add_co_ci_u32_e32 v43, vcc_lo, 0, v43, vcc_lo
	s_or_b32 vcc_lo, s4, s3
	v_cmp_eq_u32_e64 s18, 3, v80
	s_wait_alu 0xfffe
	v_add_co_ci_u32_e32 v45, vcc_lo, 0, v45, vcc_lo
	s_or_b32 vcc_lo, s6, s5
	v_lshrrev_b32_e32 v67, 2, v67
	s_wait_alu 0xfffe
	v_add_co_ci_u32_e32 v55, vcc_lo, 0, v55, vcc_lo
	s_or_b32 vcc_lo, s8, s7
	s_mul_i32 s2, s21, 0x180
	s_wait_alu 0xfffe
	v_add_co_ci_u32_e32 v57, vcc_lo, 0, v57, vcc_lo
	s_or_b32 vcc_lo, s10, s9
	s_wait_alu 0xfffe
	v_add_co_ci_u32_e32 v59, vcc_lo, 0, v59, vcc_lo
	s_or_b32 vcc_lo, s12, s11
	;; [unrolled: 3-line block ×5, first 2 shown]
	s_wait_alu 0xfffe
	v_add_co_ci_u32_e32 v67, vcc_lo, 0, v67, vcc_lo
	v_cmp_gt_i32_e32 vcc_lo, 31, v41
	s_wait_alu 0xfffd
	v_cndmask_b32_e32 v40, 0x7c00, v40, vcc_lo
	v_cmp_gt_i32_e32 vcc_lo, 31, v44
	s_wait_alu 0xfffd
	v_cndmask_b32_e32 v43, 0x7c00, v43, vcc_lo
	;; [unrolled: 3-line block ×10, first 2 shown]
	v_cmp_eq_u32_e32 vcc_lo, 0x40f, v41
	s_wait_alu 0xfffd
	v_cndmask_b32_e32 v13, v40, v13, vcc_lo
	v_cmp_eq_u32_e32 vcc_lo, 0x40f, v44
	s_delay_alu instid0(VALU_DEP_2) | instskip(SKIP_3) | instid1(VALU_DEP_3)
	v_and_or_b32 v13, 0x8000, v42, v13
	s_wait_alu 0xfffd
	v_cndmask_b32_e32 v24, v43, v24, vcc_lo
	v_cmp_eq_u32_e32 vcc_lo, 0x40f, v54
	v_and_b32_e32 v13, 0xffff, v13
	s_delay_alu instid0(VALU_DEP_3) | instskip(SKIP_3) | instid1(VALU_DEP_3)
	v_and_or_b32 v24, 0x8000, v25, v24
	s_wait_alu 0xfffd
	v_cndmask_b32_e32 v18, v45, v18, vcc_lo
	v_cmp_eq_u32_e32 vcc_lo, 0x40f, v56
	v_lshl_or_b32 v13, v24, 16, v13
	s_delay_alu instid0(VALU_DEP_3) | instskip(SKIP_3) | instid1(VALU_DEP_3)
	v_and_or_b32 v18, 0x8000, v19, v18
	s_wait_alu 0xfffd
	v_cndmask_b32_e32 v40, v55, v46, vcc_lo
	v_cmp_eq_u32_e32 vcc_lo, 0x40f, v58
	v_and_b32_e32 v18, 0xffff, v18
	s_delay_alu instid0(VALU_DEP_3) | instskip(SKIP_3) | instid1(VALU_DEP_3)
	v_and_or_b32 v19, 0x8000, v47, v40
	s_wait_alu 0xfffd
	v_cndmask_b32_e32 v32, v57, v32, vcc_lo
	v_cmp_eq_u32_e32 vcc_lo, 0x40f, v60
	v_lshl_or_b32 v18, v19, 16, v18
	s_delay_alu instid0(VALU_DEP_3) | instskip(SKIP_3) | instid1(VALU_DEP_3)
	;; [unrolled: 12-line block ×3, first 2 shown]
	v_and_or_b32 v21, 0x8000, v35, v34
	s_wait_alu 0xfffd
	v_cndmask_b32_e32 v41, v63, v52, vcc_lo
	v_cmp_eq_u32_e32 vcc_lo, 0x40f, v66
	v_and_b32_e32 v21, 0xffff, v21
	s_delay_alu instid0(VALU_DEP_3) | instskip(SKIP_3) | instid1(VALU_DEP_3)
	v_and_or_b32 v32, 0x8000, v53, v41
	s_wait_alu 0xfffd
	v_cndmask_b32_e32 v36, v65, v36, vcc_lo
	v_cmp_eq_u32_e32 vcc_lo, 0x40f, v68
	v_lshl_or_b32 v20, v32, 16, v21
	s_clause 0x3
	global_store_b32 v[16:17], v13, off
	global_store_b32 v[48:49], v18, off
	global_store_b32 v[50:51], v19, off
	global_store_b32 v[2:3], v20, off
	s_wait_alu 0xfffd
	v_cndmask_b32_e32 v38, v67, v38, vcc_lo
	v_cmp_ne_u32_e32 vcc_lo, v69, v91
	v_mul_f64_e32 v[15:16], s[28:29], v[22:23]
	v_cvt_f64_f32_e32 v[17:18], v1
	v_lshrrev_b32_e32 v19, 8, v5
	v_bfe_u32 v22, v5, 20, 11
	s_wait_alu 0xfffd
	v_cndmask_b32_e64 v13, 0, 1, vcc_lo
	v_cmp_ne_u32_e32 vcc_lo, 0, v4
	v_and_or_b32 v33, 0x8000, v37, v36
	v_and_or_b32 v21, 0x8000, v39, v38
	global_load_b32 v35, v28, s[24:25] offset:2112
	v_or_b32_e32 v1, v102, v13
	v_add_nc_u32_e32 v24, 0xfffffc10, v70
	s_wait_alu 0xfffd
	v_cndmask_b32_e64 v4, 0, 1, vcc_lo
	v_and_b32_e32 v20, 0xffff, v33
	v_lshrrev_b32_e32 v5, 16, v5
	v_mad_co_u64_u32 v[2:3], null, 0x180, s20, v[2:3]
	v_lshl_or_b32 v13, v24, 12, v6
	v_cmp_gt_i32_e32 vcc_lo, 1, v24
	v_and_or_b32 v4, 0xffe, v19, v4
	v_sub_nc_u32_e32 v19, 0x3f1, v22
	s_wait_alu 0xfffd
	v_cndmask_b32_e32 v13, v13, v1, vcc_lo
	v_mov_b32_e32 v1, v29
	v_or_b32_e32 v23, 0x1000, v4
	v_med3_i32 v25, v19, 0, 13
	v_add_nc_u32_e32 v29, 0x400, v31
	v_and_b32_e32 v19, 7, v13
	v_lshrrev_b32_e32 v13, 2, v13
	v_lshlrev_b64_e32 v[0:1], 2, v[0:1]
	v_lshrrev_b32_e32 v30, v25, v23
	v_lshl_or_b32 v21, v21, 16, v20
	v_cmp_lt_i32_e32 vcc_lo, 5, v19
	v_cmp_eq_u32_e64 s0, 3, v19
	ds_load_2addr_b32 v[19:20], v29 offset0:80 offset1:128
	v_lshlrev_b32_e32 v25, v25, v30
	v_add_co_u32 v0, s1, v8, v0
	s_or_b32 vcc_lo, s0, vcc_lo
	v_add_co_ci_u32_e64 v1, s1, v9, v1, s1
	s_wait_alu 0xfffe
	v_add_co_ci_u32_e32 v13, vcc_lo, 0, v13, vcc_lo
	v_cmp_ne_u32_e32 vcc_lo, v25, v23
	v_and_or_b32 v15, 0x1ff, v16, v15
	global_store_b32 v[0:1], v21, off
	v_mul_f64_e32 v[0:1], s[28:29], v[17:18]
	v_add_nc_u32_e32 v21, 0xfffffc10, v22
	s_wait_alu 0xfffd
	v_cndmask_b32_e64 v23, 0, 1, vcc_lo
	v_cmp_gt_i32_e32 vcc_lo, 31, v24
	v_lshrrev_b32_e32 v25, 16, v14
	v_lshrrev_b32_e32 v18, 8, v16
	v_lshl_or_b32 v17, v21, 12, v4
	v_or_b32_e32 v22, v30, v23
	s_wait_alu 0xfffd
	v_cndmask_b32_e32 v13, 0x7c00, v13, vcc_lo
	v_cmp_ne_u32_e32 vcc_lo, 0, v15
	s_wait_dscnt 0x0
	v_lshrrev_b32_e32 v23, 16, v19
	v_bfe_u32 v30, v16, 20, 11
	v_cmp_eq_u32_e64 s1, 0x40f, v24
	v_lshrrev_b32_e32 v16, 16, v16
	s_wait_alu 0xfffd
	v_cndmask_b32_e64 v15, 0, 1, vcc_lo
	v_cmp_gt_i32_e32 vcc_lo, 1, v21
	v_mul_f16_e32 v32, v23, v25
	v_add_nc_u32_e32 v3, s2, v3
	s_delay_alu instid0(VALU_DEP_4)
	v_and_or_b32 v15, 0xffe, v18, v15
	s_wait_alu 0xfffd
	v_cndmask_b32_e32 v22, v17, v22, vcc_lo
	v_cmp_ne_u32_e32 vcc_lo, 0, v6
	v_sub_nc_u32_e32 v17, 0x3f1, v30
	v_fmac_f16_e32 v32, v19, v14
	v_or_b32_e32 v33, 0x1000, v15
	v_and_b32_e32 v18, 7, v22
	s_wait_alu 0xfffd
	v_cndmask_b32_e64 v6, 0, 1, vcc_lo
	v_med3_i32 v34, v17, 0, 13
	v_cvt_f32_f16_e32 v17, v32
	v_cmp_lt_i32_e32 vcc_lo, 5, v18
	s_delay_alu instid0(VALU_DEP_4) | instskip(NEXT) | instid1(VALU_DEP_4)
	v_lshl_or_b32 v6, v6, 9, 0x7c00
	v_lshrrev_b32_e32 v32, v34, v33
	v_cmp_eq_u32_e64 s0, 3, v18
	v_cvt_f64_f32_e32 v[17:18], v17
	s_wait_alu 0xf1ff
	v_cndmask_b32_e64 v24, v13, v6, s1
	v_lshrrev_b32_e32 v6, 2, v22
	v_lshrrev_b32_e32 v22, 16, v7
	v_lshlrev_b32_e32 v7, v34, v32
	s_or_b32 vcc_lo, s0, vcc_lo
	v_and_or_b32 v0, 0x1ff, v1, v0
	s_wait_alu 0xfffe
	v_add_co_ci_u32_e32 v13, vcc_lo, 0, v6, vcc_lo
	v_cmp_ne_u32_e32 vcc_lo, v7, v33
	v_mul_f16_e32 v6, v19, v25
	v_add_nc_u32_e32 v19, 0xfffffc10, v30
	v_lshrrev_b32_e32 v25, 8, v1
	v_bfe_u32 v30, v1, 20, 11
	s_wait_alu 0xfffd
	v_cndmask_b32_e64 v7, 0, 1, vcc_lo
	v_cmp_ne_u32_e32 vcc_lo, 0, v4
	v_fma_f16 v6, v14, v23, -v6
	v_lshl_or_b32 v23, v19, 12, v15
	v_lshrrev_b32_e32 v1, 16, v1
	v_or_b32_e32 v14, v32, v7
	s_wait_alu 0xfffd
	v_cndmask_b32_e64 v4, 0, 1, vcc_lo
	v_cmp_ne_u32_e32 vcc_lo, 0, v0
	v_cvt_f32_f16_e32 v6, v6
	s_delay_alu instid0(VALU_DEP_3) | instskip(SKIP_4) | instid1(VALU_DEP_3)
	v_lshl_or_b32 v4, v4, 9, 0x7c00
	s_wait_alu 0xfffd
	v_cndmask_b32_e64 v0, 0, 1, vcc_lo
	v_cmp_gt_i32_e32 vcc_lo, 1, v19
	v_cvt_f64_f32_e32 v[6:7], v6
	v_and_or_b32 v0, 0xffe, v25, v0
	s_wait_alu 0xfffd
	v_cndmask_b32_e32 v23, v23, v14, vcc_lo
	v_cmp_gt_i32_e32 vcc_lo, 31, v21
	v_sub_nc_u32_e32 v14, 0x3f1, v30
	v_or_b32_e32 v32, 0x1000, v0
	s_delay_alu instid0(VALU_DEP_4)
	v_and_b32_e32 v25, 7, v23
	s_wait_alu 0xfffd
	v_cndmask_b32_e32 v13, 0x7c00, v13, vcc_lo
	v_cmp_eq_u32_e32 vcc_lo, 0x40f, v21
	v_med3_i32 v33, v14, 0, 13
	v_lshrrev_b32_e32 v21, 2, v23
	v_cmp_eq_u32_e64 s0, 3, v25
	s_wait_alu 0xfffd
	v_cndmask_b32_e32 v4, v13, v4, vcc_lo
	v_cmp_lt_i32_e32 vcc_lo, 5, v25
	v_mul_f64_e32 v[13:14], s[28:29], v[17:18]
	v_lshrrev_b32_e32 v17, v33, v32
	v_and_or_b32 v18, 0x8000, v22, v24
	v_and_or_b32 v22, 0x8000, v5, v4
	s_or_b32 vcc_lo, s0, vcc_lo
	s_wait_alu 0xfffe
	v_add_co_ci_u32_e32 v5, vcc_lo, 0, v21, vcc_lo
	v_lshlrev_b32_e32 v4, v33, v17
	v_cmp_ne_u32_e32 vcc_lo, 0, v15
	v_add_nc_u32_e32 v21, 0xfffffc10, v30
	s_wait_alu 0xfffd
	v_cndmask_b32_e64 v15, 0, 1, vcc_lo
	v_cmp_ne_u32_e32 vcc_lo, v4, v32
	s_delay_alu instid0(VALU_DEP_3) | instskip(NEXT) | instid1(VALU_DEP_3)
	v_lshl_or_b32 v23, v21, 12, v0
	v_lshl_or_b32 v15, v15, 9, 0x7c00
	s_wait_alu 0xfffd
	v_cndmask_b32_e64 v4, 0, 1, vcc_lo
	v_cmp_gt_i32_e32 vcc_lo, 31, v19
	s_delay_alu instid0(VALU_DEP_2)
	v_or_b32_e32 v17, v17, v4
	s_wait_alu 0xfffd
	v_cndmask_b32_e32 v5, 0x7c00, v5, vcc_lo
	v_cmp_eq_u32_e32 vcc_lo, 0x40f, v19
	v_and_b32_e32 v18, 0xffff, v18
	global_load_b32 v19, v28, s[24:25] offset:2304
	s_wait_alu 0xfffd
	v_cndmask_b32_e32 v15, v5, v15, vcc_lo
	v_mul_f64_e32 v[4:5], s[28:29], v[6:7]
	v_cmp_gt_i32_e32 vcc_lo, 1, v21
	v_lshl_or_b32 v22, v22, 16, v18
	s_delay_alu instid0(VALU_DEP_4)
	v_and_or_b32 v15, 0x8000, v16, v15
	v_and_or_b32 v13, 0x1ff, v14, v13
	s_wait_alu 0xfffd
	v_cndmask_b32_e32 v6, v23, v17, vcc_lo
	v_lshrrev_b32_e32 v17, 16, v20
	v_lshrrev_b32_e32 v23, 16, v12
	;; [unrolled: 1-line block ×3, first 2 shown]
	v_cmp_ne_u32_e64 s1, 0, v13
	v_and_b32_e32 v7, 7, v6
	v_lshrrev_b32_e32 v6, 2, v6
	v_mul_f16_e32 v24, v17, v23
	v_and_b32_e32 v15, 0xffff, v15
	s_wait_alu 0xf1ff
	v_cndmask_b32_e64 v13, 0, 1, s1
	v_cmp_lt_i32_e32 vcc_lo, 5, v7
	v_cmp_eq_u32_e64 s0, 3, v7
	v_fmac_f16_e32 v24, v20, v12
	v_mul_f16_e32 v20, v20, v23
	v_and_or_b32 v16, 0xffe, v16, v13
	s_delay_alu instid0(VALU_DEP_4) | instskip(NEXT) | instid1(VALU_DEP_3)
	s_or_b32 vcc_lo, s0, vcc_lo
	v_cvt_f32_f16_e32 v7, v24
	v_bfe_u32 v24, v14, 20, 11
	s_wait_alu 0xfffe
	v_add_co_ci_u32_e32 v25, vcc_lo, 0, v6, vcc_lo
	v_cmp_ne_u32_e32 vcc_lo, 0, v0
	v_cvt_f64_f32_e32 v[6:7], v7
	v_sub_nc_u32_e32 v13, 0x3f1, v24
	v_or_b32_e32 v23, 0x1000, v16
	v_fma_f16 v12, v12, v17, -v20
	s_wait_alu 0xfffd
	v_cndmask_b32_e64 v0, 0, 1, vcc_lo
	v_cmp_gt_i32_e32 vcc_lo, 31, v21
	v_med3_i32 v13, v13, 0, 13
	v_lshrrev_b32_e32 v14, 16, v14
	v_cvt_f32_f16_e32 v12, v12
	v_lshl_or_b32 v0, v0, 9, 0x7c00
	s_wait_alu 0xfffd
	v_cndmask_b32_e32 v17, 0x7c00, v25, vcc_lo
	v_lshrrev_b32_e32 v20, v13, v23
	v_and_or_b32 v4, 0x1ff, v5, v4
	v_cmp_eq_u32_e32 vcc_lo, 0x40f, v21
	v_lshrrev_b32_e32 v21, 8, v5
	v_bfe_u32 v25, v5, 20, 11
	s_wait_alu 0xfffd
	v_cndmask_b32_e32 v0, v17, v0, vcc_lo
	v_lshlrev_b32_e32 v17, v13, v20
	v_cmp_ne_u32_e32 vcc_lo, 0, v4
	v_cvt_f64_f32_e32 v[12:13], v12
	s_delay_alu instid0(VALU_DEP_4) | instskip(SKIP_4) | instid1(VALU_DEP_3)
	v_and_or_b32 v28, 0x8000, v1, v0
	s_wait_alu 0xfffd
	v_cndmask_b32_e64 v4, 0, 1, vcc_lo
	v_cmp_ne_u32_e32 vcc_lo, v17, v23
	v_add_nc_u32_e32 v23, 0xfffffc10, v24
	v_and_or_b32 v4, 0xffe, v21, v4
	s_wait_alu 0xfffd
	v_cndmask_b32_e64 v17, 0, 1, vcc_lo
	s_delay_alu instid0(VALU_DEP_3) | instskip(SKIP_2) | instid1(VALU_DEP_4)
	v_cmp_gt_i32_e32 vcc_lo, 1, v23
	v_sub_nc_u32_e32 v21, 0x3f1, v25
	v_or_b32_e32 v24, 0x1000, v4
	v_or_b32_e32 v17, v20, v17
	v_lshl_or_b32 v20, v23, 12, v16
	s_delay_alu instid0(VALU_DEP_4)
	v_med3_i32 v21, v21, 0, 13
	v_mul_f64_e32 v[0:1], s[28:29], v[6:7]
	ds_load_2addr_b32 v[6:7], v29 offset0:176 offset1:224
	s_wait_alu 0xfffd
	v_cndmask_b32_e32 v17, v20, v17, vcc_lo
	v_lshrrev_b32_e32 v20, v21, v24
	s_delay_alu instid0(VALU_DEP_2) | instskip(NEXT) | instid1(VALU_DEP_2)
	v_and_b32_e32 v29, 7, v17
	v_lshlrev_b32_e32 v18, v21, v20
	v_lshl_or_b32 v21, v28, 16, v15
	v_lshrrev_b32_e32 v15, 2, v17
	s_delay_alu instid0(VALU_DEP_4) | instskip(SKIP_4) | instid1(VALU_DEP_4)
	v_cmp_lt_i32_e32 vcc_lo, 5, v29
	v_cmp_eq_u32_e64 s0, 3, v29
	v_cmp_ne_u32_e64 s1, v18, v24
	v_add_nc_u32_e32 v24, 0xfffffc10, v25
	v_lshrrev_b32_e32 v25, 16, v11
	s_or_b32 vcc_lo, s0, vcc_lo
	s_delay_alu instid0(VALU_DEP_3)
	v_cndmask_b32_e64 v17, 0, 1, s1
	s_wait_alu 0xfffe
	v_add_co_ci_u32_e32 v15, vcc_lo, 0, v15, vcc_lo
	v_cmp_ne_u32_e32 vcc_lo, 0, v16
	v_lshl_or_b32 v18, v24, 12, v4
	v_or_b32_e32 v17, v20, v17
	v_mul_f64_e32 v[12:13], s[28:29], v[12:13]
	s_wait_dscnt 0x0
	v_lshrrev_b32_e32 v20, 16, v6
	s_wait_alu 0xfffd
	v_cndmask_b32_e64 v16, 0, 1, vcc_lo
	v_cmp_gt_i32_e32 vcc_lo, 31, v23
	s_delay_alu instid0(VALU_DEP_2)
	v_lshl_or_b32 v29, v16, 9, 0x7c00
	s_wait_alu 0xfffd
	v_cndmask_b32_e32 v28, 0x7c00, v15, vcc_lo
	v_cmp_gt_i32_e32 vcc_lo, 1, v24
	v_and_or_b32 v0, 0x1ff, v1, v0
	s_wait_alu 0xfffd
	v_cndmask_b32_e32 v17, v18, v17, vcc_lo
	v_add_co_u32 v15, vcc_lo, v2, s26
	s_wait_alu 0xfffd
	v_add_co_ci_u32_e32 v16, vcc_lo, s27, v3, vcc_lo
	v_cmp_eq_u32_e32 vcc_lo, 0x40f, v23
	v_mul_f16_e32 v18, v20, v25
	v_cmp_ne_u32_e64 s1, 0, v0
	global_store_b32 v[2:3], v22, off
	global_store_b32 v[15:16], v21, off
	s_wait_alu 0xfffd
	v_cndmask_b32_e32 v23, v28, v29, vcc_lo
	v_fmac_f16_e32 v18, v6, v11
	s_wait_alu 0xf1ff
	v_cndmask_b32_e64 v0, 0, 1, s1
	v_lshrrev_b32_e32 v29, 8, v1
	v_mul_f16_e32 v6, v6, v25
	v_and_or_b32 v14, 0x8000, v14, v23
	v_cvt_f32_f16_e32 v18, v18
	s_delay_alu instid0(VALU_DEP_4) | instskip(NEXT) | instid1(VALU_DEP_4)
	v_and_or_b32 v0, 0xffe, v29, v0
	v_fma_f16 v6, v11, v20, -v6
	s_delay_alu instid0(VALU_DEP_4)
	v_and_b32_e32 v14, 0xffff, v14
	v_and_b32_e32 v30, 7, v17
	v_lshrrev_b32_e32 v28, 2, v17
	v_cvt_f64_f32_e32 v[17:18], v18
	v_or_b32_e32 v32, 0x1000, v0
	v_and_or_b32 v12, 0x1ff, v13, v12
	v_cmp_lt_i32_e32 vcc_lo, 5, v30
	v_cmp_eq_u32_e64 s0, 3, v30
	v_bfe_u32 v30, v1, 20, 11
	v_cvt_f32_f16_e32 v6, v6
	v_lshrrev_b32_e32 v1, 16, v1
	s_delay_alu instid0(VALU_DEP_4) | instskip(NEXT) | instid1(VALU_DEP_3)
	s_or_b32 vcc_lo, s0, vcc_lo
	v_sub_nc_u32_e32 v29, 0x3f1, v30
	s_wait_alu 0xfffe
	v_add_co_ci_u32_e32 v28, vcc_lo, 0, v28, vcc_lo
	v_cmp_ne_u32_e32 vcc_lo, 0, v4
	v_add_nc_u32_e32 v20, 0xfffffc10, v30
	v_med3_i32 v29, v29, 0, 13
	s_wait_alu 0xfffd
	v_cndmask_b32_e64 v4, 0, 1, vcc_lo
	v_cmp_gt_i32_e32 vcc_lo, 31, v24
	s_delay_alu instid0(VALU_DEP_2)
	v_lshl_or_b32 v4, v4, 9, 0x7c00
	s_wait_alu 0xfffd
	v_cndmask_b32_e32 v28, 0x7c00, v28, vcc_lo
	v_cmp_eq_u32_e32 vcc_lo, 0x40f, v24
	v_lshrrev_b32_e32 v24, 8, v13
	s_wait_alu 0xfffd
	s_delay_alu instid0(VALU_DEP_3) | instskip(SKIP_4) | instid1(VALU_DEP_4)
	v_cndmask_b32_e32 v23, v28, v4, vcc_lo
	v_lshrrev_b32_e32 v4, v29, v32
	v_cmp_ne_u32_e32 vcc_lo, 0, v12
	v_bfe_u32 v28, v13, 20, 11
	v_lshrrev_b32_e32 v13, 16, v13
	v_lshlrev_b32_e32 v25, v29, v4
	s_wait_alu 0xfffd
	v_cndmask_b32_e64 v12, 0, 1, vcc_lo
	v_lshrrev_b32_e32 v29, 16, v5
	v_sub_nc_u32_e32 v5, 0x3f1, v28
	v_add_nc_u32_e32 v22, 0xfffffc10, v28
	v_cmp_ne_u32_e32 vcc_lo, v25, v32
	v_and_or_b32 v24, 0xffe, v24, v12
	s_delay_alu instid0(VALU_DEP_4) | instskip(NEXT) | instid1(VALU_DEP_4)
	v_med3_i32 v30, v5, 0, 13
	v_cmp_gt_i32_e64 s1, 1, v22
	s_wait_alu 0xfffd
	v_cndmask_b32_e64 v11, 0, 1, vcc_lo
	v_or_b32_e32 v25, 0x1000, v24
	v_cmp_gt_i32_e32 vcc_lo, 1, v20
	s_delay_alu instid0(VALU_DEP_3)
	v_or_b32_e32 v32, v4, v11
	v_cvt_f64_f32_e32 v[11:12], v6
	v_mul_f64_e32 v[4:5], s[28:29], v[17:18]
	v_lshrrev_b32_e32 v18, v30, v25
	v_lshl_or_b32 v17, v20, 12, v0
	v_and_or_b32 v6, 0x8000, v29, v23
	s_delay_alu instid0(VALU_DEP_3) | instskip(SKIP_1) | instid1(VALU_DEP_3)
	v_lshlrev_b32_e32 v23, v30, v18
	s_wait_alu 0xfffd
	v_cndmask_b32_e32 v17, v17, v32, vcc_lo
	s_delay_alu instid0(VALU_DEP_3) | instskip(NEXT) | instid1(VALU_DEP_3)
	v_lshl_or_b32 v6, v6, 16, v14
	v_cmp_ne_u32_e32 vcc_lo, v23, v25
	s_delay_alu instid0(VALU_DEP_3)
	v_and_b32_e32 v14, 7, v17
	s_wait_alu 0xfffd
	v_cndmask_b32_e64 v21, 0, 1, vcc_lo
	v_add_co_u32 v2, vcc_lo, v15, s26
	s_wait_alu 0xfffd
	v_add_co_ci_u32_e32 v3, vcc_lo, s27, v16, vcc_lo
	v_cmp_lt_i32_e32 vcc_lo, 5, v14
	v_cmp_eq_u32_e64 s0, 3, v14
	v_or_b32_e32 v14, v18, v21
	v_lshl_or_b32 v15, v22, 12, v24
	v_lshrrev_b32_e32 v18, 16, v7
	v_lshrrev_b32_e32 v21, 16, v10
	;; [unrolled: 1-line block ×3, first 2 shown]
	s_or_b32 vcc_lo, s0, vcc_lo
	v_cndmask_b32_e64 v17, v15, v14, s1
	global_store_b32 v[2:3], v6, off
	v_mul_f16_e32 v15, v18, v21
	s_wait_alu 0xfffe
	v_add_co_ci_u32_e32 v14, vcc_lo, 0, v16, vcc_lo
	v_and_b32_e32 v6, 7, v17
	v_cmp_gt_i32_e32 vcc_lo, 31, v20
	v_fmac_f16_e32 v15, v7, v10
	v_mul_f64_e32 v[11:12], s[28:29], v[11:12]
	v_and_or_b32 v4, 0x1ff, v5, v4
	v_cmp_eq_u32_e64 s0, 3, v6
	s_wait_alu 0xfffd
	v_cndmask_b32_e32 v23, 0x7c00, v14, vcc_lo
	v_cmp_lt_i32_e32 vcc_lo, 5, v6
	v_cvt_f32_f16_e32 v6, v15
	v_cmp_ne_u32_e64 s1, 0, v4
	v_lshrrev_b32_e32 v16, 8, v5
	v_bfe_u32 v25, v5, 20, 11
	s_or_b32 vcc_lo, s0, vcc_lo
	v_cvt_f64_f32_e32 v[14:15], v6
	v_lshrrev_b32_e32 v6, 2, v17
	v_cndmask_b32_e64 v4, 0, 1, s1
	v_cmp_ne_u32_e64 s1, 0, v0
	v_mad_co_u64_u32 v[2:3], null, 0x180, s20, v[2:3]
	s_wait_alu 0xfffe
	v_add_co_ci_u32_e32 v6, vcc_lo, 0, v6, vcc_lo
	v_cmp_ne_u32_e32 vcc_lo, 0, v24
	s_wait_alu 0xf1ff
	v_cndmask_b32_e64 v0, 0, 1, s1
	v_and_or_b32 v4, 0xffe, v16, v4
	v_sub_nc_u32_e32 v16, 0x3f1, v25
	v_add_nc_u32_e32 v3, s2, v3
	s_wait_alu 0xfffd
	v_cndmask_b32_e64 v17, 0, 1, vcc_lo
	v_cmp_gt_i32_e32 vcc_lo, 31, v22
	v_or_b32_e32 v24, 0x1000, v4
	v_med3_i32 v28, v16, 0, 13
	v_lshl_or_b32 v0, v0, 9, 0x7c00
	v_lshl_or_b32 v29, v17, 9, 0x7c00
	s_wait_alu 0xfffd
	v_cndmask_b32_e32 v6, 0x7c00, v6, vcc_lo
	v_cmp_eq_u32_e32 vcc_lo, 0x40f, v20
	v_lshrrev_b32_e32 v30, v28, v24
	v_mad_co_u64_u32 v[16:17], null, s20, v27, 0
	s_wait_alu 0xfffd
	v_cndmask_b32_e32 v0, v23, v0, vcc_lo
	v_cmp_eq_u32_e32 vcc_lo, 0x40f, v22
	v_lshlrev_b32_e32 v20, v28, v30
	v_add_nc_u32_e32 v23, 0xfffffc10, v25
	s_delay_alu instid0(VALU_DEP_4)
	v_and_or_b32 v22, 0x8000, v1, v0
	s_wait_alu 0xfffd
	v_cndmask_b32_e32 v6, v6, v29, vcc_lo
	v_cmp_ne_u32_e32 vcc_lo, v20, v24
	v_mov_b32_e32 v0, v17
	v_lshl_or_b32 v24, v23, 12, v4
	s_delay_alu instid0(VALU_DEP_4)
	v_and_or_b32 v20, 0x8000, v13, v6
	v_and_or_b32 v6, 0x1ff, v12, v11
	s_wait_alu 0xfffd
	v_cndmask_b32_e64 v17, 0, 1, vcc_lo
	v_mul_f64_e32 v[13:14], s[28:29], v[14:15]
	v_mad_co_u64_u32 v[0:1], null, s21, v27, v[0:1]
	v_cmp_ne_u32_e32 vcc_lo, 0, v6
	s_delay_alu instid0(VALU_DEP_4)
	v_or_b32_e32 v1, v30, v17
	v_lshrrev_b32_e32 v15, 8, v12
	v_mul_f16_e32 v17, v7, v21
	v_bfe_u32 v21, v12, 20, 11
	s_wait_alu 0xfffd
	v_cndmask_b32_e64 v11, 0, 1, vcc_lo
	v_add_nc_u32_e32 v6, 0x800, v31
	v_cmp_gt_i32_e32 vcc_lo, 1, v23
	v_fma_f16 v10, v10, v18, -v17
	v_mov_b32_e32 v17, v0
	v_and_or_b32 v25, 0xffe, v15, v11
	v_sub_nc_u32_e32 v11, 0x3f1, v21
	ds_load_2addr_b32 v[6:7], v6 offset0:16 offset1:64
	s_wait_alu 0xfffd
	v_cndmask_b32_e32 v15, v24, v1, vcc_lo
	v_cvt_f32_f16_e32 v1, v10
	v_and_b32_e32 v10, 0xffff, v22
	v_or_b32_e32 v18, 0x1000, v25
	v_med3_i32 v24, v11, 0, 13
	v_and_b32_e32 v22, 7, v15
	v_lshrrev_b32_e32 v15, 2, v15
	v_lshl_or_b32 v20, v20, 16, v10
	v_lshlrev_b64_e32 v[10:11], 2, v[16:17]
	v_lshrrev_b32_e32 v27, v24, v18
	v_cmp_lt_i32_e32 vcc_lo, 5, v22
	v_cmp_eq_u32_e64 s0, 3, v22
	v_cvt_f64_f32_e32 v[0:1], v1
	s_wait_loadcnt 0x1
	v_lshrrev_b32_e32 v22, 16, v35
	v_lshlrev_b32_e32 v16, v24, v27
	s_or_b32 vcc_lo, s0, vcc_lo
	s_wait_alu 0xfffe
	v_add_co_ci_u32_e32 v24, vcc_lo, 0, v15, vcc_lo
	s_delay_alu instid0(VALU_DEP_2)
	v_cmp_ne_u32_e64 s1, v16, v18
	s_wait_dscnt 0x0
	v_lshrrev_b32_e32 v17, 16, v6
	v_add_nc_u32_e32 v18, 0xfffffc10, v21
	v_cmp_ne_u32_e32 vcc_lo, 0, v4
	v_and_or_b32 v13, 0x1ff, v14, v13
	s_wait_alu 0xf1ff
	v_cndmask_b32_e64 v16, 0, 1, s1
	v_mul_f16_e32 v21, v17, v22
	v_bfe_u32 v28, v14, 20, 11
	s_wait_alu 0xfffd
	v_cndmask_b32_e64 v4, 0, 1, vcc_lo
	v_cmp_gt_i32_e32 vcc_lo, 1, v18
	v_or_b32_e32 v15, v27, v16
	v_lshl_or_b32 v16, v18, 12, v25
	v_fmac_f16_e32 v21, v6, v35
	v_lshl_or_b32 v4, v4, 9, 0x7c00
	v_mul_f16_e32 v6, v6, v22
	s_wait_alu 0xfffd
	v_cndmask_b32_e32 v27, v16, v15, vcc_lo
	v_cmp_ne_u32_e32 vcc_lo, 0, v13
	v_cvt_f32_f16_e32 v15, v21
	v_lshrrev_b32_e32 v21, 8, v14
	v_fma_f16 v6, v35, v17, -v6
	v_lshrrev_b32_e32 v14, 16, v14
	s_wait_alu 0xfffd
	v_cndmask_b32_e64 v13, 0, 1, vcc_lo
	v_cmp_gt_i32_e32 vcc_lo, 31, v23
	v_cvt_f64_f32_e32 v[15:16], v15
	v_cvt_f32_f16_e32 v6, v6
	s_delay_alu instid0(VALU_DEP_4)
	v_and_or_b32 v21, 0xffe, v21, v13
	s_wait_alu 0xfffd
	v_cndmask_b32_e32 v24, 0x7c00, v24, vcc_lo
	v_cmp_eq_u32_e32 vcc_lo, 0x40f, v23
	v_sub_nc_u32_e32 v13, 0x3f1, v28
	v_mul_f64_e32 v[0:1], s[28:29], v[0:1]
	v_or_b32_e32 v30, 0x1000, v21
	s_wait_alu 0xfffd
	v_cndmask_b32_e32 v23, v24, v4, vcc_lo
	v_lshrrev_b32_e32 v24, 16, v5
	v_med3_i32 v13, v13, 0, 13
	v_add_co_u32 v4, s1, v8, v10
	s_wait_alu 0xf1ff
	v_add_co_ci_u32_e64 v5, s1, v9, v11, s1
	v_and_or_b32 v23, 0x8000, v24, v23
	v_add_nc_u32_e32 v24, 0xfffffc10, v28
	v_and_b32_e32 v29, 7, v27
	v_lshrrev_b32_e32 v10, 2, v27
	global_store_b32 v[4:5], v20, off
	v_lshrrev_b32_e32 v20, 16, v7
	v_lshl_or_b32 v17, v24, 12, v21
	v_cmp_lt_i32_e32 vcc_lo, 5, v29
	v_cmp_eq_u32_e64 s0, 3, v29
	v_lshrrev_b32_e32 v29, v13, v30
	s_delay_alu instid0(VALU_DEP_2) | instskip(NEXT) | instid1(VALU_DEP_1)
	s_or_b32 vcc_lo, s0, vcc_lo
	v_lshlrev_b32_e32 v11, v13, v29
	s_wait_alu 0xfffe
	v_add_co_ci_u32_e32 v10, vcc_lo, 0, v10, vcc_lo
	v_cmp_ne_u32_e32 vcc_lo, 0, v25
	s_wait_alu 0xfffd
	v_cndmask_b32_e64 v13, 0, 1, vcc_lo
	v_cmp_ne_u32_e32 vcc_lo, v11, v30
	s_delay_alu instid0(VALU_DEP_2)
	v_lshl_or_b32 v13, v13, 9, 0x7c00
	s_wait_alu 0xfffd
	v_cndmask_b32_e64 v11, 0, 1, vcc_lo
	v_cmp_gt_i32_e32 vcc_lo, 31, v18
	v_and_or_b32 v0, 0x1ff, v1, v0
	v_lshrrev_b32_e32 v5, 8, v1
	s_delay_alu instid0(VALU_DEP_4)
	v_or_b32_e32 v25, v29, v11
	s_wait_alu 0xfffd
	v_cndmask_b32_e32 v22, 0x7c00, v10, vcc_lo
	v_mul_f64_e32 v[10:11], s[28:29], v[15:16]
	v_cmp_eq_u32_e32 vcc_lo, 0x40f, v18
	v_lshrrev_b32_e32 v16, 16, v12
	v_bfe_u32 v18, v1, 20, 11
	v_lshrrev_b32_e32 v1, 16, v1
	s_wait_alu 0xfffd
	v_cndmask_b32_e32 v15, v22, v13, vcc_lo
	v_cmp_gt_i32_e32 vcc_lo, 1, v24
	v_cvt_f64_f32_e32 v[12:13], v6
	s_wait_loadcnt 0x0
	v_lshrrev_b32_e32 v6, 16, v19
	v_and_or_b32 v15, 0x8000, v16, v15
	s_wait_alu 0xfffd
	v_dual_cndmask_b32 v17, v17, v25 :: v_dual_and_b32 v16, 0xffff, v23
	v_cmp_ne_u32_e32 vcc_lo, 0, v0
	v_mul_f16_e32 v22, v20, v6
	v_mul_f16_e32 v27, v7, v6
	s_delay_alu instid0(VALU_DEP_4) | instskip(SKIP_4) | instid1(VALU_DEP_3)
	v_lshl_or_b32 v15, v15, 16, v16
	v_and_b32_e32 v4, 7, v17
	s_wait_alu 0xfffd
	v_cndmask_b32_e64 v0, 0, 1, vcc_lo
	v_fmac_f16_e32 v22, v7, v19
	v_cmp_lt_i32_e32 vcc_lo, 5, v4
	v_cmp_eq_u32_e64 s0, 3, v4
	v_lshrrev_b32_e32 v4, 2, v17
	v_and_or_b32 v0, 0xffe, v5, v0
	v_sub_nc_u32_e32 v5, 0x3f1, v18
	v_add_nc_u32_e32 v18, 0xfffffc10, v18
	s_or_b32 vcc_lo, s0, vcc_lo
	s_wait_alu 0xfffe
	v_add_co_ci_u32_e32 v4, vcc_lo, 0, v4, vcc_lo
	v_or_b32_e32 v17, 0x1000, v0
	v_med3_i32 v23, v5, 0, 13
	v_cmp_ne_u32_e32 vcc_lo, 0, v21
	v_cvt_f32_f16_e32 v5, v22
	v_and_or_b32 v10, 0x1ff, v11, v10
	s_delay_alu instid0(VALU_DEP_4)
	v_lshrrev_b32_e32 v22, v23, v17
	s_wait_alu 0xfffd
	v_cndmask_b32_e64 v21, 0, 1, vcc_lo
	v_cmp_gt_i32_e32 vcc_lo, 31, v24
	v_bfe_u32 v28, v11, 20, 11
	v_lshlrev_b32_e32 v23, v23, v22
	s_delay_alu instid0(VALU_DEP_4)
	v_lshl_or_b32 v21, v21, 9, 0x7c00
	s_wait_alu 0xfffd
	v_cndmask_b32_e32 v25, 0x7c00, v4, vcc_lo
	v_cmp_ne_u32_e32 vcc_lo, 0, v10
	v_cvt_f64_f32_e32 v[4:5], v5
	v_mul_f64_e32 v[6:7], s[28:29], v[12:13]
	v_lshrrev_b32_e32 v12, 8, v11
	v_fma_f16 v13, v19, v20, -v27
	s_wait_alu 0xfffd
	v_cndmask_b32_e64 v10, 0, 1, vcc_lo
	v_cmp_ne_u32_e32 vcc_lo, v23, v17
	v_lshl_or_b32 v19, v18, 12, v0
	v_cvt_f32_f16_e32 v13, v13
	s_delay_alu instid0(VALU_DEP_4)
	v_and_or_b32 v10, 0xffe, v12, v10
	s_wait_alu 0xfffd
	v_cndmask_b32_e64 v17, 0, 1, vcc_lo
	v_sub_nc_u32_e32 v12, 0x3f1, v28
	v_cmp_gt_i32_e32 vcc_lo, 1, v18
	v_or_b32_e32 v20, 0x1000, v10
	s_delay_alu instid0(VALU_DEP_4) | instskip(NEXT) | instid1(VALU_DEP_4)
	v_or_b32_e32 v17, v22, v17
	v_med3_i32 v22, v12, 0, 13
	v_cvt_f64_f32_e32 v[12:13], v13
	s_wait_alu 0xfffd
	s_delay_alu instid0(VALU_DEP_3) | instskip(SKIP_1) | instid1(VALU_DEP_2)
	v_cndmask_b32_e32 v17, v19, v17, vcc_lo
	v_cmp_eq_u32_e32 vcc_lo, 0x40f, v24
	v_and_b32_e32 v23, 7, v17
	s_wait_alu 0xfffd
	v_cndmask_b32_e32 v19, v25, v21, vcc_lo
	v_lshrrev_b32_e32 v21, v22, v20
	v_lshrrev_b32_e32 v17, 2, v17
	v_cmp_lt_i32_e32 vcc_lo, 5, v23
	v_cmp_eq_u32_e64 s0, 3, v23
	s_delay_alu instid0(VALU_DEP_4) | instskip(SKIP_2) | instid1(VALU_DEP_4)
	v_lshlrev_b32_e32 v16, v22, v21
	v_and_or_b32 v14, 0x8000, v14, v19
	v_add_nc_u32_e32 v19, 0xfffffc10, v28
	s_or_b32 vcc_lo, s0, vcc_lo
	s_delay_alu instid0(VALU_DEP_3)
	v_cmp_ne_u32_e64 s1, v16, v20
	s_wait_alu 0xfffe
	v_add_co_ci_u32_e32 v17, vcc_lo, 0, v17, vcc_lo
	v_cmp_ne_u32_e32 vcc_lo, 0, v0
	v_mul_f64_e32 v[4:5], s[28:29], v[4:5]
	s_wait_alu 0xf1ff
	v_cndmask_b32_e64 v16, 0, 1, s1
	v_lshl_or_b32 v20, v19, 12, v10
	v_and_or_b32 v6, 0x1ff, v7, v6
	s_wait_alu 0xfffd
	v_cndmask_b32_e64 v0, 0, 1, vcc_lo
	v_cmp_gt_i32_e32 vcc_lo, 1, v19
	v_or_b32_e32 v16, v21, v16
	v_bfe_u32 v21, v7, 20, 11
	v_and_b32_e32 v14, 0xffff, v14
	v_lshl_or_b32 v0, v0, 9, 0x7c00
	s_wait_alu 0xfffd
	v_cndmask_b32_e32 v16, v20, v16, vcc_lo
	v_cmp_ne_u32_e32 vcc_lo, 0, v6
	v_lshrrev_b32_e32 v20, 8, v7
	v_mul_f64_e32 v[12:13], s[28:29], v[12:13]
	v_lshrrev_b32_e32 v7, 16, v7
	v_and_b32_e32 v22, 7, v16
	s_wait_alu 0xfffd
	v_cndmask_b32_e64 v6, 0, 1, vcc_lo
	v_cmp_gt_i32_e32 vcc_lo, 31, v18
	s_delay_alu instid0(VALU_DEP_3) | instskip(NEXT) | instid1(VALU_DEP_3)
	v_cmp_eq_u32_e64 s0, 3, v22
	v_and_or_b32 v6, 0xffe, v20, v6
	s_wait_alu 0xfffd
	v_cndmask_b32_e32 v17, 0x7c00, v17, vcc_lo
	v_cmp_eq_u32_e32 vcc_lo, 0x40f, v18
	v_sub_nc_u32_e32 v20, 0x3f1, v21
	s_wait_alu 0xfffd
	s_delay_alu instid0(VALU_DEP_3) | instskip(SKIP_1) | instid1(VALU_DEP_3)
	v_cndmask_b32_e32 v0, v17, v0, vcc_lo
	v_or_b32_e32 v17, 0x1000, v6
	v_med3_i32 v18, v20, 0, 13
	v_cmp_lt_i32_e32 vcc_lo, 5, v22
	s_delay_alu instid0(VALU_DEP_4) | instskip(SKIP_1) | instid1(VALU_DEP_4)
	v_and_or_b32 v0, 0x8000, v1, v0
	v_lshrrev_b32_e32 v1, 2, v16
	v_lshrrev_b32_e32 v16, v18, v17
	s_or_b32 vcc_lo, s0, vcc_lo
	v_bfe_u32 v20, v5, 20, 11
	v_lshl_or_b32 v14, v0, 16, v14
	s_wait_alu 0xfffe
	v_add_co_ci_u32_e32 v1, vcc_lo, 0, v1, vcc_lo
	v_lshlrev_b32_e32 v18, v18, v16
	v_cmp_gt_i32_e32 vcc_lo, 31, v19
	v_and_or_b32 v0, 0x1ff, v5, v4
	s_wait_alu 0xfffd
	v_cndmask_b32_e32 v1, 0x7c00, v1, vcc_lo
	v_cmp_ne_u32_e32 vcc_lo, v18, v17
	v_add_nc_u32_e32 v17, 0xfffffc10, v21
	v_lshrrev_b32_e32 v18, 8, v5
	v_and_or_b32 v12, 0x1ff, v13, v12
	v_lshrrev_b32_e32 v21, 8, v13
	s_wait_alu 0xfffd
	v_cndmask_b32_e64 v4, 0, 1, vcc_lo
	v_cmp_ne_u32_e32 vcc_lo, 0, v0
	v_bfe_u32 v22, v13, 20, 11
	v_cmp_eq_u32_e64 s1, 0x40f, v17
	s_delay_alu instid0(VALU_DEP_4) | instskip(SKIP_4) | instid1(VALU_DEP_3)
	v_or_b32_e32 v4, v16, v4
	s_wait_alu 0xfffd
	v_cndmask_b32_e64 v0, 0, 1, vcc_lo
	v_cmp_ne_u32_e32 vcc_lo, 0, v10
	v_lshl_or_b32 v16, v17, 12, v6
	v_and_or_b32 v0, 0xffe, v18, v0
	s_wait_alu 0xfffd
	v_cndmask_b32_e64 v10, 0, 1, vcc_lo
	v_sub_nc_u32_e32 v18, 0x3f1, v20
	v_cmp_gt_i32_e32 vcc_lo, 1, v17
	s_delay_alu instid0(VALU_DEP_3) | instskip(NEXT) | instid1(VALU_DEP_3)
	v_lshl_or_b32 v10, v10, 9, 0x7c00
	v_med3_i32 v18, v18, 0, 13
	s_wait_alu 0xfffd
	v_cndmask_b32_e32 v4, v16, v4, vcc_lo
	v_or_b32_e32 v16, 0x1000, v0
	v_cmp_eq_u32_e32 vcc_lo, 0x40f, v19
	s_delay_alu instid0(VALU_DEP_2)
	v_lshrrev_b32_e32 v19, v18, v16
	s_wait_alu 0xfffd
	v_cndmask_b32_e32 v1, v1, v10, vcc_lo
	v_cmp_ne_u32_e32 vcc_lo, 0, v12
	v_lshrrev_b32_e32 v10, 16, v11
	v_and_b32_e32 v11, 7, v4
	v_lshlrev_b32_e32 v18, v18, v19
	v_lshrrev_b32_e32 v4, 2, v4
	s_wait_alu 0xfffd
	v_cndmask_b32_e64 v12, 0, 1, vcc_lo
	v_and_or_b32 v10, 0x8000, v10, v1
	v_cmp_lt_i32_e32 vcc_lo, 5, v11
	v_cmp_ne_u32_e64 s0, v18, v16
	v_sub_nc_u32_e32 v1, 0x3f1, v22
	v_and_or_b32 v12, 0xffe, v21, v12
	v_add_nc_u32_e32 v18, 0xfffffc10, v20
	s_wait_alu 0xf1ff
	v_cndmask_b32_e64 v16, 0, 1, s0
	v_cmp_eq_u32_e64 s0, 3, v11
	v_or_b32_e32 v20, 0x1000, v12
	v_med3_i32 v1, v1, 0, 13
	s_delay_alu instid0(VALU_DEP_4) | instskip(NEXT) | instid1(VALU_DEP_4)
	v_or_b32_e32 v11, v19, v16
	s_or_b32 vcc_lo, s0, vcc_lo
	v_lshl_or_b32 v16, v18, 12, v0
	s_wait_alu 0xfffe
	v_add_co_ci_u32_e32 v4, vcc_lo, 0, v4, vcc_lo
	v_cmp_gt_i32_e32 vcc_lo, 1, v18
	v_lshrrev_b32_e32 v19, v1, v20
	s_wait_alu 0xfffd
	v_cndmask_b32_e32 v11, v16, v11, vcc_lo
	v_cmp_gt_i32_e32 vcc_lo, 31, v17
	s_wait_alu 0xfffd
	v_dual_cndmask_b32 v4, 0x7c00, v4 :: v_dual_lshlrev_b32 v1, v1, v19
	v_cmp_ne_u32_e32 vcc_lo, 0, v6
	s_wait_alu 0xfffd
	v_cndmask_b32_e64 v6, 0, 1, vcc_lo
	s_delay_alu instid0(VALU_DEP_3) | instskip(SKIP_2) | instid1(VALU_DEP_4)
	v_cmp_ne_u32_e32 vcc_lo, v1, v20
	v_add_nc_u32_e32 v20, 0xfffffc10, v22
	v_and_b32_e32 v16, 7, v11
	v_lshl_or_b32 v6, v6, 9, 0x7c00
	s_wait_alu 0xfffd
	v_cndmask_b32_e64 v1, 0, 1, vcc_lo
	s_delay_alu instid0(VALU_DEP_3) | instskip(SKIP_2) | instid1(VALU_DEP_4)
	v_cmp_lt_i32_e32 vcc_lo, 5, v16
	v_cmp_eq_u32_e64 s0, 3, v16
	v_lshl_or_b32 v16, v20, 12, v12
	v_or_b32_e32 v1, v19, v1
	v_cndmask_b32_e64 v6, v4, v6, s1
	v_lshrrev_b32_e32 v4, 2, v11
	v_cmp_gt_i32_e64 s1, 1, v20
	s_or_b32 vcc_lo, s0, vcc_lo
	s_delay_alu instid0(VALU_DEP_3) | instskip(SKIP_1) | instid1(VALU_DEP_3)
	v_and_or_b32 v6, 0x8000, v7, v6
	v_and_b32_e32 v7, 0xffff, v10
	v_cndmask_b32_e64 v11, v16, v1, s1
	s_wait_alu 0xfffe
	v_add_co_ci_u32_e32 v1, vcc_lo, 0, v4, vcc_lo
	v_cmp_ne_u32_e32 vcc_lo, 0, v0
	v_cmp_eq_u32_e64 s1, 0x40f, v18
	v_and_b32_e32 v4, 7, v11
	s_wait_alu 0xfffd
	v_cndmask_b32_e64 v0, 0, 1, vcc_lo
	v_cmp_gt_i32_e32 vcc_lo, 31, v18
	s_delay_alu instid0(VALU_DEP_3) | instskip(NEXT) | instid1(VALU_DEP_3)
	v_cmp_eq_u32_e64 s0, 3, v4
	v_lshl_or_b32 v17, v0, 9, 0x7c00
	s_wait_alu 0xfffd
	v_cndmask_b32_e32 v16, 0x7c00, v1, vcc_lo
	v_cmp_lt_i32_e32 vcc_lo, 5, v4
	v_lshrrev_b32_e32 v4, 2, v11
	v_mad_co_u64_u32 v[0:1], null, s20, v26, 0
	s_wait_alu 0xf1ff
	v_cndmask_b32_e64 v11, v16, v17, s1
	s_or_b32 vcc_lo, s0, vcc_lo
	v_lshrrev_b32_e32 v16, 16, v5
	s_wait_alu 0xfffe
	v_add_co_ci_u32_e32 v4, vcc_lo, 0, v4, vcc_lo
	v_cmp_ne_u32_e32 vcc_lo, 0, v12
	s_delay_alu instid0(VALU_DEP_3) | instskip(SKIP_3) | instid1(VALU_DEP_3)
	v_and_or_b32 v10, 0x8000, v16, v11
	s_wait_alu 0xfffd
	v_cndmask_b32_e64 v12, 0, 1, vcc_lo
	v_cmp_gt_i32_e32 vcc_lo, 31, v20
	v_and_b32_e32 v10, 0xffff, v10
	s_wait_alu 0xfffd
	v_cndmask_b32_e32 v17, 0x7c00, v4, vcc_lo
	v_mad_co_u64_u32 v[4:5], null, s21, v26, v[1:2]
	v_lshl_or_b32 v1, v12, 9, 0x7c00
	v_cmp_eq_u32_e32 vcc_lo, 0x40f, v20
	v_lshrrev_b32_e32 v12, 16, v13
	v_lshl_or_b32 v13, v6, 16, v7
	s_wait_alu 0xfffd
	v_cndmask_b32_e32 v11, v17, v1, vcc_lo
	v_mov_b32_e32 v1, v4
	v_add_co_u32 v4, vcc_lo, v2, s26
	s_wait_alu 0xfffd
	v_add_co_ci_u32_e32 v5, vcc_lo, s27, v3, vcc_lo
	s_delay_alu instid0(VALU_DEP_3) | instskip(SKIP_4) | instid1(VALU_DEP_4)
	v_lshlrev_b64_e32 v[0:1], 2, v[0:1]
	v_and_or_b32 v11, 0x8000, v12, v11
	v_add_co_u32 v6, vcc_lo, v4, s26
	s_wait_alu 0xfffd
	v_add_co_ci_u32_e32 v7, vcc_lo, s27, v5, vcc_lo
	v_add_co_u32 v0, vcc_lo, v8, v0
	v_lshl_or_b32 v10, v11, 16, v10
	s_wait_alu 0xfffd
	v_add_co_ci_u32_e32 v1, vcc_lo, v9, v1, vcc_lo
	global_store_b32 v[2:3], v15, off
	global_store_b32 v[4:5], v14, off
	;; [unrolled: 1-line block ×4, first 2 shown]
.LBB0_15:
	s_nop 0
	s_sendmsg sendmsg(MSG_DEALLOC_VGPRS)
	s_endpgm
	.section	.rodata,"a",@progbits
	.p2align	6, 0x0
	.amdhsa_kernel bluestein_single_back_len624_dim1_half_op_CI_CI
		.amdhsa_group_segment_fixed_size 2496
		.amdhsa_private_segment_fixed_size 0
		.amdhsa_kernarg_size 104
		.amdhsa_user_sgpr_count 2
		.amdhsa_user_sgpr_dispatch_ptr 0
		.amdhsa_user_sgpr_queue_ptr 0
		.amdhsa_user_sgpr_kernarg_segment_ptr 1
		.amdhsa_user_sgpr_dispatch_id 0
		.amdhsa_user_sgpr_private_segment_size 0
		.amdhsa_wavefront_size32 1
		.amdhsa_uses_dynamic_stack 0
		.amdhsa_enable_private_segment 0
		.amdhsa_system_sgpr_workgroup_id_x 1
		.amdhsa_system_sgpr_workgroup_id_y 0
		.amdhsa_system_sgpr_workgroup_id_z 0
		.amdhsa_system_sgpr_workgroup_info 0
		.amdhsa_system_vgpr_workitem_id 0
		.amdhsa_next_free_vgpr 173
		.amdhsa_next_free_sgpr 30
		.amdhsa_reserve_vcc 1
		.amdhsa_float_round_mode_32 0
		.amdhsa_float_round_mode_16_64 0
		.amdhsa_float_denorm_mode_32 3
		.amdhsa_float_denorm_mode_16_64 3
		.amdhsa_fp16_overflow 0
		.amdhsa_workgroup_processor_mode 1
		.amdhsa_memory_ordered 1
		.amdhsa_forward_progress 0
		.amdhsa_round_robin_scheduling 0
		.amdhsa_exception_fp_ieee_invalid_op 0
		.amdhsa_exception_fp_denorm_src 0
		.amdhsa_exception_fp_ieee_div_zero 0
		.amdhsa_exception_fp_ieee_overflow 0
		.amdhsa_exception_fp_ieee_underflow 0
		.amdhsa_exception_fp_ieee_inexact 0
		.amdhsa_exception_int_div_zero 0
	.end_amdhsa_kernel
	.text
.Lfunc_end0:
	.size	bluestein_single_back_len624_dim1_half_op_CI_CI, .Lfunc_end0-bluestein_single_back_len624_dim1_half_op_CI_CI
                                        ; -- End function
	.section	.AMDGPU.csdata,"",@progbits
; Kernel info:
; codeLenInByte = 23196
; NumSgprs: 32
; NumVgprs: 173
; ScratchSize: 0
; MemoryBound: 0
; FloatMode: 240
; IeeeMode: 1
; LDSByteSize: 2496 bytes/workgroup (compile time only)
; SGPRBlocks: 3
; VGPRBlocks: 21
; NumSGPRsForWavesPerEU: 32
; NumVGPRsForWavesPerEU: 173
; Occupancy: 8
; WaveLimiterHint : 1
; COMPUTE_PGM_RSRC2:SCRATCH_EN: 0
; COMPUTE_PGM_RSRC2:USER_SGPR: 2
; COMPUTE_PGM_RSRC2:TRAP_HANDLER: 0
; COMPUTE_PGM_RSRC2:TGID_X_EN: 1
; COMPUTE_PGM_RSRC2:TGID_Y_EN: 0
; COMPUTE_PGM_RSRC2:TGID_Z_EN: 0
; COMPUTE_PGM_RSRC2:TIDIG_COMP_CNT: 0
	.text
	.p2alignl 7, 3214868480
	.fill 96, 4, 3214868480
	.type	__hip_cuid_eafa0768f8ef527b,@object ; @__hip_cuid_eafa0768f8ef527b
	.section	.bss,"aw",@nobits
	.globl	__hip_cuid_eafa0768f8ef527b
__hip_cuid_eafa0768f8ef527b:
	.byte	0                               ; 0x0
	.size	__hip_cuid_eafa0768f8ef527b, 1

	.ident	"AMD clang version 19.0.0git (https://github.com/RadeonOpenCompute/llvm-project roc-6.4.0 25133 c7fe45cf4b819c5991fe208aaa96edf142730f1d)"
	.section	".note.GNU-stack","",@progbits
	.addrsig
	.addrsig_sym __hip_cuid_eafa0768f8ef527b
	.amdgpu_metadata
---
amdhsa.kernels:
  - .args:
      - .actual_access:  read_only
        .address_space:  global
        .offset:         0
        .size:           8
        .value_kind:     global_buffer
      - .actual_access:  read_only
        .address_space:  global
        .offset:         8
        .size:           8
        .value_kind:     global_buffer
      - .actual_access:  read_only
        .address_space:  global
        .offset:         16
        .size:           8
        .value_kind:     global_buffer
      - .actual_access:  read_only
        .address_space:  global
        .offset:         24
        .size:           8
        .value_kind:     global_buffer
      - .actual_access:  read_only
        .address_space:  global
        .offset:         32
        .size:           8
        .value_kind:     global_buffer
      - .offset:         40
        .size:           8
        .value_kind:     by_value
      - .address_space:  global
        .offset:         48
        .size:           8
        .value_kind:     global_buffer
      - .address_space:  global
        .offset:         56
        .size:           8
        .value_kind:     global_buffer
      - .address_space:  global
        .offset:         64
        .size:           8
        .value_kind:     global_buffer
      - .address_space:  global
        .offset:         72
        .size:           8
        .value_kind:     global_buffer
      - .offset:         80
        .size:           4
        .value_kind:     by_value
      - .address_space:  global
        .offset:         88
        .size:           8
        .value_kind:     global_buffer
      - .address_space:  global
        .offset:         96
        .size:           8
        .value_kind:     global_buffer
    .group_segment_fixed_size: 2496
    .kernarg_segment_align: 8
    .kernarg_segment_size: 104
    .language:       OpenCL C
    .language_version:
      - 2
      - 0
    .max_flat_workgroup_size: 52
    .name:           bluestein_single_back_len624_dim1_half_op_CI_CI
    .private_segment_fixed_size: 0
    .sgpr_count:     32
    .sgpr_spill_count: 0
    .symbol:         bluestein_single_back_len624_dim1_half_op_CI_CI.kd
    .uniform_work_group_size: 1
    .uses_dynamic_stack: false
    .vgpr_count:     173
    .vgpr_spill_count: 0
    .wavefront_size: 32
    .workgroup_processor_mode: 1
amdhsa.target:   amdgcn-amd-amdhsa--gfx1201
amdhsa.version:
  - 1
  - 2
...

	.end_amdgpu_metadata
